;; amdgpu-corpus repo=zjin-lcf/HeCBench kind=compiled arch=gfx1250 opt=O3
	.amdgcn_target "amdgcn-amd-amdhsa--gfx1250"
	.amdhsa_code_object_version 6
	.section	.text._ZL4initiiPiS_S_P8EdgeInfoS_S_,"axG",@progbits,_ZL4initiiPiS_S_P8EdgeInfoS_S_,comdat
	.globl	_ZL4initiiPiS_S_P8EdgeInfoS_S_  ; -- Begin function _ZL4initiiPiS_S_P8EdgeInfoS_S_
	.p2align	8
	.type	_ZL4initiiPiS_S_P8EdgeInfoS_S_,@function
_ZL4initiiPiS_S_P8EdgeInfoS_S_:         ; @_ZL4initiiPiS_S_P8EdgeInfoS_S_
; %bb.0:
	s_load_b64 s[2:3], s[0:1], 0x0
	s_bfe_u32 s16, ttmp6, 0x4000c
	s_clause 0x2
	s_load_b128 s[12:15], s[0:1], 0x28
	s_load_b32 s19, s[0:1], 0x38
	s_load_b256 s[4:11], s[0:1], 0x8
	s_add_co_i32 s16, s16, 1
	s_wait_xcnt 0x0
	s_and_b32 s0, ttmp6, 15
	s_mul_i32 s1, ttmp9, s16
	s_getreg_b32 s16, hwreg(HW_REG_IB_STS2, 6, 4)
	s_add_co_i32 s0, s0, s1
	s_cmp_eq_u32 s16, 0
	s_mov_b32 s1, 0
	s_cselect_b32 s0, ttmp9, s0
	s_delay_alu instid0(SALU_CYCLE_1) | instskip(NEXT) | instid1(VALU_DEP_1)
	v_lshl_add_u32 v0, s0, 8, v0
	v_ashrrev_i32_e32 v1, 31, v0
	s_wait_kmcnt 0x0
	v_cmp_gt_i32_e32 vcc_lo, s2, v0
	s_lshl_b32 s16, s19, 8
	s_and_saveexec_b32 s18, vcc_lo
	s_cbranch_execz .LBB0_3
; %bb.1:
	v_lshl_add_u64 v[2:3], v[0:1], 2, s[4:5]
	v_mov_b32_e32 v4, v0
	s_ashr_i32 s17, s16, 31
	s_delay_alu instid0(SALU_CYCLE_1)
	s_lshl_b64 s[4:5], s[16:17], 2
.LBB0_2:                                ; =>This Inner Loop Header: Depth=1
	global_load_b32 v5, v[2:3], off
	s_wait_loadcnt 0x0
	v_dual_add_nc_u32 v4, s16, v4 :: v_dual_lshlrev_b32 v5, 1, v5
	s_delay_alu instid0(VALU_DEP_1) | instskip(SKIP_4) | instid1(SALU_CYCLE_1)
	v_cmp_le_i32_e64 s0, s2, v4
	global_store_b32 v[2:3], v5, off
	s_wait_xcnt 0x0
	v_add_nc_u64_e32 v[2:3], s[4:5], v[2:3]
	s_or_b32 s1, s0, s1
	s_and_not1_b32 exec_lo, exec_lo, s1
	s_cbranch_execnz .LBB0_2
.LBB0_3:
	s_or_b32 exec_lo, exec_lo, s18
	s_delay_alu instid0(SALU_CYCLE_1)
	s_mov_b32 s18, exec_lo
	v_cmpx_gt_i32_e64 s3, v0
	s_cbranch_execz .LBB0_11
; %bb.4:
	s_cvt_f32_u32 s0, s16
	v_add_nc_u32_e32 v3, s16, v0
	s_sub_co_i32 s4, 0, s16
	s_mov_b32 s5, -1
	v_rcp_iflag_f32_e32 v2, s0
	v_nop
	s_delay_alu instid0(TRANS32_DEP_1) | instskip(SKIP_3) | instid1(SALU_CYCLE_2)
	v_readfirstlane_b32 s0, v2
	v_max_i32_e32 v2, s3, v3
	s_mul_f32 s1, s0, 0x4f7ffffe
	v_cmp_gt_i32_e64 s0, s3, v3
	s_cvt_u32_f32 s1, s1
	v_add_co_ci_u32_e64 v4, null, s16, v0, s0
	s_delay_alu instid0(SALU_CYCLE_2) | instskip(NEXT) | instid1(SALU_CYCLE_1)
	s_mul_i32 s4, s4, s1
	s_mul_hi_u32 s4, s1, s4
	v_sub_nc_u32_e32 v2, v2, v4
	s_add_co_i32 s1, s1, s4
	s_mov_b32 s4, 0
	s_delay_alu instid0(VALU_DEP_1) | instskip(NEXT) | instid1(VALU_DEP_1)
	v_mul_hi_u32 v4, v2, s1
	v_mul_lo_u32 v5, v4, s16
	s_delay_alu instid0(VALU_DEP_1) | instskip(NEXT) | instid1(VALU_DEP_1)
	v_dual_sub_nc_u32 v2, v2, v5 :: v_dual_add_nc_u32 v5, 1, v4
	v_subrev_nc_u32_e32 v6, s16, v2
	v_cmp_le_u32_e64 s1, s16, v2
	s_delay_alu instid0(VALU_DEP_1) | instskip(NEXT) | instid1(VALU_DEP_1)
	v_dual_cndmask_b32 v4, v4, v5, s1 :: v_dual_cndmask_b32 v2, v2, v6, s1
	v_add_nc_u32_e32 v5, 1, v4
	s_delay_alu instid0(VALU_DEP_2) | instskip(NEXT) | instid1(VALU_DEP_1)
	v_cmp_le_u32_e64 s1, s16, v2
	v_cndmask_b32_e64 v2, v4, v5, s1
	s_mov_b32 s1, exec_lo
	s_delay_alu instid0(VALU_DEP_1) | instskip(SKIP_1) | instid1(VALU_DEP_2)
	v_add_co_ci_u32_e64 v4, null, 1, v2, s0
	v_mov_b32_e32 v2, v0
	v_cmpx_lt_u32_e32 1, v4
	s_cbranch_execz .LBB0_8
; %bb.5:
	v_dual_mov_b32 v2, v0 :: v_dual_bitop2_b32 v5, -2, v4 bitop3:0x40
	v_mov_b32_e32 v6, 0
	s_lshl_b32 s5, s19, 9
	s_delay_alu instid0(SALU_CYCLE_1) | instskip(NEXT) | instid1(VALU_DEP_2)
	s_mov_b32 s17, s5
	v_mov_b32_e32 v7, v5
.LBB0_6:                                ; =>This Inner Loop Header: Depth=1
	s_delay_alu instid0(VALU_DEP_1)
	v_add_nc_u32_e32 v7, -2, v7
	global_store_b32 v2, v6, s[8:9] scale_offset
	s_wait_xcnt 0x0
	v_add_nc_u32_e32 v2, s5, v2
	global_store_b32 v3, v6, s[8:9] scale_offset
	s_wait_xcnt 0x0
	v_add_nc_u32_e32 v3, s17, v3
	v_cmp_eq_u32_e64 s0, 0, v7
	s_or_b32 s4, s0, s4
	s_delay_alu instid0(SALU_CYCLE_1)
	s_and_not1_b32 exec_lo, exec_lo, s4
	s_cbranch_execnz .LBB0_6
; %bb.7:
	s_or_b32 exec_lo, exec_lo, s4
	v_mad_u32 v2, v5, s16, v0
	v_cmp_ne_u32_e64 s0, v4, v5
	s_or_not1_b32 s5, s0, exec_lo
.LBB0_8:
	s_or_b32 exec_lo, exec_lo, s1
	s_delay_alu instid0(SALU_CYCLE_1)
	s_and_b32 exec_lo, exec_lo, s5
	s_cbranch_execz .LBB0_11
; %bb.9:
	v_ashrrev_i32_e32 v3, 31, v2
	s_ashr_i32 s17, s16, 31
	s_mov_b32 s1, 0
	s_lshl_b64 s[4:5], s[16:17], 2
	s_delay_alu instid0(VALU_DEP_1)
	v_lshl_add_u64 v[4:5], v[2:3], 2, s[8:9]
	v_mov_b32_e32 v3, 0
.LBB0_10:                               ; =>This Inner Loop Header: Depth=1
	v_add_nc_u32_e32 v2, s16, v2
	global_store_b32 v[4:5], v3, off
	s_wait_xcnt 0x0
	v_add_nc_u64_e32 v[4:5], s[4:5], v[4:5]
	v_cmp_le_i32_e64 s0, s3, v2
	s_or_b32 s1, s0, s1
	s_delay_alu instid0(SALU_CYCLE_1)
	s_and_not1_b32 exec_lo, exec_lo, s1
	s_cbranch_execnz .LBB0_10
.LBB0_11:
	s_or_b32 exec_lo, exec_lo, s18
	s_and_saveexec_b32 s0, vcc_lo
	s_cbranch_execz .LBB0_16
; %bb.12:
	v_lshlrev_b64_e32 v[2:3], 2, v[0:1]
	v_lshl_add_u64 v[6:7], v[0:1], 3, s[10:11]
	v_mov_b32_e32 v1, v0
	s_ashr_i32 s17, s16, 31
	s_mov_b32 s3, 0
	s_lshl_b64 s[0:1], s[16:17], 2
	v_add_nc_u64_e32 v[6:7], 4, v[6:7]
	v_add_nc_u64_e32 v[4:5], s[6:7], v[2:3]
	s_lshl_b64 s[4:5], s[16:17], 3
.LBB0_13:                               ; =>This Inner Loop Header: Depth=1
	global_load_b32 v8, v[4:5], off
	v_add_nc_u32_e32 v1, s16, v1
	s_wait_xcnt 0x0
	v_add_nc_u64_e32 v[4:5], s[0:1], v[4:5]
	s_wait_loadcnt 0x0
	v_cmp_eq_u32_e32 vcc_lo, -1, v8
	v_cndmask_b32_e64 v8, 0, 1, vcc_lo
	v_cmp_le_i32_e32 vcc_lo, s2, v1
	global_store_b32 v[6:7], v8, off
	s_wait_xcnt 0x0
	v_add_nc_u64_e32 v[6:7], s[4:5], v[6:7]
	s_or_b32 s3, vcc_lo, s3
	s_delay_alu instid0(SALU_CYCLE_1)
	s_and_not1_b32 exec_lo, exec_lo, s3
	s_cbranch_execnz .LBB0_13
; %bb.14:
	s_or_b32 exec_lo, exec_lo, s3
	v_mov_b32_e32 v1, 0
	s_mov_b32 s3, 0
.LBB0_15:                               ; =>This Inner Loop Header: Depth=1
	v_add_nc_u32_e32 v0, s16, v0
	v_add_nc_u64_e32 v[4:5], s[12:13], v[2:3]
	v_add_nc_u64_e32 v[6:7], s[14:15], v[2:3]
	;; [unrolled: 1-line block ×3, first 2 shown]
	global_store_b32 v[4:5], v1, off
	global_store_b32 v[6:7], v1, off
	v_cmp_le_i32_e32 vcc_lo, s2, v0
	s_or_b32 s3, vcc_lo, s3
	s_wait_xcnt 0x0
	s_and_not1_b32 exec_lo, exec_lo, s3
	s_cbranch_execnz .LBB0_15
.LBB0_16:
	s_endpgm
	.section	.rodata,"a",@progbits
	.p2align	6, 0x0
	.amdhsa_kernel _ZL4initiiPiS_S_P8EdgeInfoS_S_
		.amdhsa_group_segment_fixed_size 0
		.amdhsa_private_segment_fixed_size 0
		.amdhsa_kernarg_size 312
		.amdhsa_user_sgpr_count 2
		.amdhsa_user_sgpr_dispatch_ptr 0
		.amdhsa_user_sgpr_queue_ptr 0
		.amdhsa_user_sgpr_kernarg_segment_ptr 1
		.amdhsa_user_sgpr_dispatch_id 0
		.amdhsa_user_sgpr_kernarg_preload_length 0
		.amdhsa_user_sgpr_kernarg_preload_offset 0
		.amdhsa_user_sgpr_private_segment_size 0
		.amdhsa_wavefront_size32 1
		.amdhsa_uses_dynamic_stack 0
		.amdhsa_enable_private_segment 0
		.amdhsa_system_sgpr_workgroup_id_x 1
		.amdhsa_system_sgpr_workgroup_id_y 0
		.amdhsa_system_sgpr_workgroup_id_z 0
		.amdhsa_system_sgpr_workgroup_info 0
		.amdhsa_system_vgpr_workitem_id 0
		.amdhsa_next_free_vgpr 9
		.amdhsa_next_free_sgpr 20
		.amdhsa_named_barrier_count 0
		.amdhsa_reserve_vcc 1
		.amdhsa_float_round_mode_32 0
		.amdhsa_float_round_mode_16_64 0
		.amdhsa_float_denorm_mode_32 3
		.amdhsa_float_denorm_mode_16_64 3
		.amdhsa_fp16_overflow 0
		.amdhsa_memory_ordered 1
		.amdhsa_forward_progress 1
		.amdhsa_inst_pref_size 7
		.amdhsa_round_robin_scheduling 0
		.amdhsa_exception_fp_ieee_invalid_op 0
		.amdhsa_exception_fp_denorm_src 0
		.amdhsa_exception_fp_ieee_div_zero 0
		.amdhsa_exception_fp_ieee_overflow 0
		.amdhsa_exception_fp_ieee_underflow 0
		.amdhsa_exception_fp_ieee_inexact 0
		.amdhsa_exception_int_div_zero 0
	.end_amdhsa_kernel
	.section	.text._ZL4initiiPiS_S_P8EdgeInfoS_S_,"axG",@progbits,_ZL4initiiPiS_S_P8EdgeInfoS_S_,comdat
.Lfunc_end0:
	.size	_ZL4initiiPiS_S_P8EdgeInfoS_S_, .Lfunc_end0-_ZL4initiiPiS_S_P8EdgeInfoS_S_
                                        ; -- End function
	.set _ZL4initiiPiS_S_P8EdgeInfoS_S_.num_vgpr, 9
	.set _ZL4initiiPiS_S_P8EdgeInfoS_S_.num_agpr, 0
	.set _ZL4initiiPiS_S_P8EdgeInfoS_S_.numbered_sgpr, 20
	.set _ZL4initiiPiS_S_P8EdgeInfoS_S_.num_named_barrier, 0
	.set _ZL4initiiPiS_S_P8EdgeInfoS_S_.private_seg_size, 0
	.set _ZL4initiiPiS_S_P8EdgeInfoS_S_.uses_vcc, 1
	.set _ZL4initiiPiS_S_P8EdgeInfoS_S_.uses_flat_scratch, 0
	.set _ZL4initiiPiS_S_P8EdgeInfoS_S_.has_dyn_sized_stack, 0
	.set _ZL4initiiPiS_S_P8EdgeInfoS_S_.has_recursion, 0
	.set _ZL4initiiPiS_S_P8EdgeInfoS_S_.has_indirect_call, 0
	.section	.AMDGPU.csdata,"",@progbits
; Kernel info:
; codeLenInByte = 872
; TotalNumSgprs: 22
; NumVgprs: 9
; ScratchSize: 0
; MemoryBound: 0
; FloatMode: 240
; IeeeMode: 1
; LDSByteSize: 0 bytes/workgroup (compile time only)
; SGPRBlocks: 0
; VGPRBlocks: 0
; NumSGPRsForWavesPerEU: 22
; NumVGPRsForWavesPerEU: 9
; NamedBarCnt: 0
; Occupancy: 16
; WaveLimiterHint : 0
; COMPUTE_PGM_RSRC2:SCRATCH_EN: 0
; COMPUTE_PGM_RSRC2:USER_SGPR: 2
; COMPUTE_PGM_RSRC2:TRAP_HANDLER: 0
; COMPUTE_PGM_RSRC2:TGID_X_EN: 1
; COMPUTE_PGM_RSRC2:TGID_Y_EN: 0
; COMPUTE_PGM_RSRC2:TGID_Z_EN: 0
; COMPUTE_PGM_RSRC2:TIDIG_COMP_CNT: 0
	.section	.text._ZL5init2iiiPiS_S_S_S_,"axG",@progbits,_ZL5init2iiiPiS_S_S_S_,comdat
	.globl	_ZL5init2iiiPiS_S_S_S_          ; -- Begin function _ZL5init2iiiPiS_S_S_S_
	.p2align	8
	.type	_ZL5init2iiiPiS_S_S_S_,@function
_ZL5init2iiiPiS_S_S_S_:                 ; @_ZL5init2iiiPiS_S_S_S_
; %bb.0:
	s_clause 0x2
	s_load_b96 s[16:18], s[0:1], 0x0
	s_load_b96 s[12:14], s[0:1], 0x30
	s_load_b256 s[4:11], s[0:1], 0x10
	s_bfe_u32 s2, ttmp6, 0x4000c
	s_wait_xcnt 0x0
	s_and_b32 s0, ttmp6, 15
	s_add_co_i32 s2, s2, 1
	s_mov_b32 s15, 0
	s_mul_i32 s1, ttmp9, s2
	s_getreg_b32 s2, hwreg(HW_REG_IB_STS2, 6, 4)
	s_add_co_i32 s0, s0, s1
	s_cmp_eq_u32 s2, 0
	s_mov_b32 s19, exec_lo
	s_cselect_b32 s0, ttmp9, s0
	s_delay_alu instid0(SALU_CYCLE_1) | instskip(SKIP_2) | instid1(VALU_DEP_1)
	v_lshl_add_u32 v0, s0, 8, v0
	s_wait_kmcnt 0x0
	s_lshl_b32 s2, s14, 8
	v_cmpx_gt_i32_e64 s16, v0
	s_cbranch_execz .LBB1_3
; %bb.1:
	v_ashrrev_i32_e32 v1, 31, v0
	s_ashr_i32 s3, s2, 31
	s_delay_alu instid0(SALU_CYCLE_1) | instskip(NEXT) | instid1(VALU_DEP_1)
	s_lshl_b64 s[0:1], s[2:3], 2
	v_lshl_add_u64 v[2:3], v[0:1], 2, s[4:5]
	v_mov_b32_e32 v1, v0
.LBB1_2:                                ; =>This Inner Loop Header: Depth=1
	global_load_u16 v4, v[2:3], off
	s_wait_loadcnt 0x0
	v_dual_add_nc_u32 v1, s2, v1 :: v_dual_bitop2_b32 v4, -2, v4 bitop3:0x40
	s_delay_alu instid0(VALU_DEP_1) | instskip(SKIP_4) | instid1(SALU_CYCLE_1)
	v_cmp_le_i32_e32 vcc_lo, s16, v1
	global_store_b16 v[2:3], v4, off
	s_wait_xcnt 0x0
	v_add_nc_u64_e32 v[2:3], s[0:1], v[2:3]
	s_or_b32 s15, vcc_lo, s15
	s_and_not1_b32 exec_lo, exec_lo, s15
	s_cbranch_execnz .LBB1_2
.LBB1_3:
	s_or_b32 exec_lo, exec_lo, s19
	s_delay_alu instid0(SALU_CYCLE_1)
	s_mov_b32 s15, exec_lo
	v_cmpx_gt_i32_e64 s17, v0
	s_cbranch_execz .LBB1_18
; %bb.4:
	s_cvt_f32_u32 s0, s2
	v_add_nc_u32_e32 v1, s2, v0
	s_sub_co_i32 s1, 0, s2
	s_mov_b32 s3, 0
	v_rcp_iflag_f32_e32 v2, s0
	s_delay_alu instid0(VALU_DEP_1) | instskip(SKIP_1) | instid1(TRANS32_DEP_1)
	v_cmp_gt_i32_e32 vcc_lo, s17, v1
	v_add_co_ci_u32_e64 v3, null, s2, v0, vcc_lo
	v_readfirstlane_b32 s0, v2
	v_max_i32_e32 v2, s17, v1
	s_mul_f32 s0, s0, 0x4f7ffffe
	s_delay_alu instid0(VALU_DEP_1) | instskip(NEXT) | instid1(SALU_CYCLE_2)
	v_sub_nc_u32_e32 v2, v2, v3
	s_cvt_u32_f32 s0, s0
	s_delay_alu instid0(SALU_CYCLE_3) | instskip(NEXT) | instid1(SALU_CYCLE_1)
	s_mul_i32 s1, s1, s0
	s_mul_hi_u32 s1, s0, s1
	s_delay_alu instid0(SALU_CYCLE_1) | instskip(NEXT) | instid1(SALU_CYCLE_1)
	s_add_co_i32 s0, s0, s1
	v_mul_hi_u32 v3, v2, s0
	s_delay_alu instid0(VALU_DEP_1) | instskip(NEXT) | instid1(VALU_DEP_1)
	v_mul_lo_u32 v4, v3, s2
	v_dual_sub_nc_u32 v2, v2, v4 :: v_dual_add_nc_u32 v4, 1, v3
	s_delay_alu instid0(VALU_DEP_1) | instskip(NEXT) | instid1(VALU_DEP_1)
	v_cmp_le_u32_e64 s0, s2, v2
	v_cndmask_b32_e64 v3, v3, v4, s0
	v_subrev_nc_u32_e32 v5, s2, v2
	s_delay_alu instid0(VALU_DEP_1) | instskip(NEXT) | instid1(VALU_DEP_1)
	v_dual_add_nc_u32 v4, 1, v3 :: v_dual_cndmask_b32 v2, v2, v5, s0
	v_cmp_le_u32_e64 s0, s2, v2
	s_delay_alu instid0(VALU_DEP_1) | instskip(SKIP_1) | instid1(VALU_DEP_1)
	v_cndmask_b32_e64 v2, v3, v4, s0
	s_mov_b32 s0, -1
	v_add_co_ci_u32_e64 v6, null, 1, v2, vcc_lo
	v_mov_b32_e32 v2, v0
	s_delay_alu instid0(VALU_DEP_2)
	v_cmp_lt_u32_e32 vcc_lo, 1, v6
	v_and_b32_e32 v7, -2, v6
	s_and_saveexec_b32 s1, vcc_lo
	s_cbranch_execz .LBB1_8
; %bb.5:
	v_and_b32_e32 v4, -2, v6
	v_mov_b64_e32 v[2:3], v[0:1]
	s_lshl_b32 s5, s14, 9
	s_mov_b32 s4, s18
	s_mov_b32 s16, s18
	v_mov_b32_e32 v5, v4
	s_mov_b32 s19, s5
.LBB1_6:                                ; =>This Inner Loop Header: Depth=1
	s_delay_alu instid0(VALU_DEP_2) | instskip(NEXT) | instid1(VALU_DEP_2)
	v_cmp_eq_u32_e64 s0, s4, v2
	v_add_nc_u32_e32 v5, -2, v5
	s_delay_alu instid0(VALU_DEP_2)
	v_cndmask_b32_e64 v8, -1, 0x7ffffffc, s0
	v_cmp_eq_u32_e64 s0, s16, v3
	global_store_b32 v2, v8, s[6:7] scale_offset
	v_cndmask_b32_e64 v9, -1, 0x7ffffffc, s0
	s_wait_xcnt 0x0
	v_add_nc_u32_e32 v2, s5, v2
	global_store_b32 v3, v9, s[6:7] scale_offset
	s_wait_xcnt 0x0
	v_add_nc_u32_e32 v3, s19, v3
	v_cmp_eq_u32_e64 s0, 0, v5
	s_or_b32 s3, s0, s3
	s_delay_alu instid0(SALU_CYCLE_1)
	s_and_not1_b32 exec_lo, exec_lo, s3
	s_cbranch_execnz .LBB1_6
; %bb.7:
	s_or_b32 exec_lo, exec_lo, s3
	v_mad_u32 v2, v4, s2, v0
	v_cmp_ne_u32_e64 s0, v6, v4
	s_or_not1_b32 s0, s0, exec_lo
.LBB1_8:
	s_or_b32 exec_lo, exec_lo, s1
	s_and_saveexec_b32 s1, s0
	s_cbranch_execz .LBB1_11
; %bb.9:
	v_ashrrev_i32_e32 v3, 31, v2
	s_ashr_i32 s3, s2, 31
	s_delay_alu instid0(SALU_CYCLE_1) | instskip(SKIP_1) | instid1(VALU_DEP_1)
	s_lshl_b64 s[4:5], s[2:3], 2
	s_mov_b32 s3, 0
	v_lshl_add_u64 v[4:5], v[2:3], 2, s[6:7]
.LBB1_10:                               ; =>This Inner Loop Header: Depth=1
	v_cmp_eq_u32_e64 s0, s18, v2
	v_add_nc_u32_e32 v2, s2, v2
	s_delay_alu instid0(VALU_DEP_2) | instskip(NEXT) | instid1(VALU_DEP_2)
	v_cndmask_b32_e64 v3, -1, 0x7ffffffc, s0
	v_cmp_le_i32_e64 s0, s17, v2
	global_store_b32 v[4:5], v3, off
	s_wait_xcnt 0x0
	v_add_nc_u64_e32 v[4:5], s[4:5], v[4:5]
	s_or_b32 s3, s0, s3
	s_delay_alu instid0(SALU_CYCLE_1)
	s_and_not1_b32 exec_lo, exec_lo, s3
	s_cbranch_execnz .LBB1_10
.LBB1_11:
	s_or_b32 exec_lo, exec_lo, s1
	v_mov_b32_e32 v2, v0
	s_mov_b32 s1, -1
	s_and_saveexec_b32 s0, vcc_lo
	s_cbranch_execz .LBB1_15
; %bb.12:
	v_mov_b64_e32 v[2:3], v[0:1]
	v_dual_mov_b32 v4, 1 :: v_dual_mov_b32 v5, v7
	s_lshl_b32 s1, s14, 9
	s_mov_b32 s3, 0
	s_mov_b32 s4, s1
.LBB1_13:                               ; =>This Inner Loop Header: Depth=1
	s_delay_alu instid0(VALU_DEP_1)
	v_add_nc_u32_e32 v5, -2, v5
	s_clause 0x1
	global_store_b32 v2, v4, s[10:11] scale_offset
	global_store_b32 v3, v4, s[10:11] scale_offset
	s_wait_xcnt 0x0
	v_dual_add_nc_u32 v3, s4, v3 :: v_dual_add_nc_u32 v2, s1, v2
	v_cmp_eq_u32_e32 vcc_lo, 0, v5
	s_or_b32 s3, vcc_lo, s3
	s_delay_alu instid0(SALU_CYCLE_1)
	s_and_not1_b32 exec_lo, exec_lo, s3
	s_cbranch_execnz .LBB1_13
; %bb.14:
	s_or_b32 exec_lo, exec_lo, s3
	v_mad_u32 v2, v7, s2, v0
	v_cmp_ne_u32_e32 vcc_lo, v6, v7
	s_or_not1_b32 s1, vcc_lo, exec_lo
.LBB1_15:
	s_or_b32 exec_lo, exec_lo, s0
	s_delay_alu instid0(SALU_CYCLE_1)
	s_and_b32 exec_lo, exec_lo, s1
	s_cbranch_execz .LBB1_18
; %bb.16:
	s_delay_alu instid0(VALU_DEP_1) | instskip(SKIP_1) | instid1(SALU_CYCLE_1)
	v_dual_ashrrev_i32 v3, 31, v2 :: v_dual_mov_b32 v1, 1
	s_ashr_i32 s3, s2, 31
	s_lshl_b64 s[0:1], s[2:3], 2
	s_delay_alu instid0(VALU_DEP_1)
	v_lshl_add_u64 v[4:5], v[2:3], 2, s[10:11]
	s_mov_b32 s3, 0
.LBB1_17:                               ; =>This Inner Loop Header: Depth=1
	v_add_nc_u32_e32 v2, s2, v2
	global_store_b32 v[4:5], v1, off
	s_wait_xcnt 0x0
	v_add_nc_u64_e32 v[4:5], s[0:1], v[4:5]
	v_cmp_le_i32_e32 vcc_lo, s17, v2
	s_or_b32 s3, vcc_lo, s3
	s_delay_alu instid0(SALU_CYCLE_1)
	s_and_not1_b32 exec_lo, exec_lo, s3
	s_cbranch_execnz .LBB1_17
.LBB1_18:
	s_or_b32 exec_lo, exec_lo, s15
	s_delay_alu instid0(SALU_CYCLE_1)
	s_mov_b32 s0, exec_lo
	v_cmpx_eq_u32_e32 0, v0
	s_cbranch_execz .LBB1_20
; %bb.19:
	v_dual_mov_b32 v0, 0 :: v_dual_mov_b32 v1, s18
	v_mov_b32_e32 v2, 1
	s_clause 0x1
	global_store_b32 v0, v1, s[8:9]
	global_store_b32 v0, v2, s[12:13]
.LBB1_20:
	s_endpgm
	.section	.rodata,"a",@progbits
	.p2align	6, 0x0
	.amdhsa_kernel _ZL5init2iiiPiS_S_S_S_
		.amdhsa_group_segment_fixed_size 0
		.amdhsa_private_segment_fixed_size 0
		.amdhsa_kernarg_size 312
		.amdhsa_user_sgpr_count 2
		.amdhsa_user_sgpr_dispatch_ptr 0
		.amdhsa_user_sgpr_queue_ptr 0
		.amdhsa_user_sgpr_kernarg_segment_ptr 1
		.amdhsa_user_sgpr_dispatch_id 0
		.amdhsa_user_sgpr_kernarg_preload_length 0
		.amdhsa_user_sgpr_kernarg_preload_offset 0
		.amdhsa_user_sgpr_private_segment_size 0
		.amdhsa_wavefront_size32 1
		.amdhsa_uses_dynamic_stack 0
		.amdhsa_enable_private_segment 0
		.amdhsa_system_sgpr_workgroup_id_x 1
		.amdhsa_system_sgpr_workgroup_id_y 0
		.amdhsa_system_sgpr_workgroup_id_z 0
		.amdhsa_system_sgpr_workgroup_info 0
		.amdhsa_system_vgpr_workitem_id 0
		.amdhsa_next_free_vgpr 10
		.amdhsa_next_free_sgpr 20
		.amdhsa_named_barrier_count 0
		.amdhsa_reserve_vcc 1
		.amdhsa_float_round_mode_32 0
		.amdhsa_float_round_mode_16_64 0
		.amdhsa_float_denorm_mode_32 3
		.amdhsa_float_denorm_mode_16_64 3
		.amdhsa_fp16_overflow 0
		.amdhsa_memory_ordered 1
		.amdhsa_forward_progress 1
		.amdhsa_inst_pref_size 8
		.amdhsa_round_robin_scheduling 0
		.amdhsa_exception_fp_ieee_invalid_op 0
		.amdhsa_exception_fp_denorm_src 0
		.amdhsa_exception_fp_ieee_div_zero 0
		.amdhsa_exception_fp_ieee_overflow 0
		.amdhsa_exception_fp_ieee_underflow 0
		.amdhsa_exception_fp_ieee_inexact 0
		.amdhsa_exception_int_div_zero 0
	.end_amdhsa_kernel
	.section	.text._ZL5init2iiiPiS_S_S_S_,"axG",@progbits,_ZL5init2iiiPiS_S_S_S_,comdat
.Lfunc_end1:
	.size	_ZL5init2iiiPiS_S_S_S_, .Lfunc_end1-_ZL5init2iiiPiS_S_S_S_
                                        ; -- End function
	.set _ZL5init2iiiPiS_S_S_S_.num_vgpr, 10
	.set _ZL5init2iiiPiS_S_S_S_.num_agpr, 0
	.set _ZL5init2iiiPiS_S_S_S_.numbered_sgpr, 20
	.set _ZL5init2iiiPiS_S_S_S_.num_named_barrier, 0
	.set _ZL5init2iiiPiS_S_S_S_.private_seg_size, 0
	.set _ZL5init2iiiPiS_S_S_S_.uses_vcc, 1
	.set _ZL5init2iiiPiS_S_S_S_.uses_flat_scratch, 0
	.set _ZL5init2iiiPiS_S_S_S_.has_dyn_sized_stack, 0
	.set _ZL5init2iiiPiS_S_S_S_.has_recursion, 0
	.set _ZL5init2iiiPiS_S_S_S_.has_indirect_call, 0
	.section	.AMDGPU.csdata,"",@progbits
; Kernel info:
; codeLenInByte = 1020
; TotalNumSgprs: 22
; NumVgprs: 10
; ScratchSize: 0
; MemoryBound: 0
; FloatMode: 240
; IeeeMode: 1
; LDSByteSize: 0 bytes/workgroup (compile time only)
; SGPRBlocks: 0
; VGPRBlocks: 0
; NumSGPRsForWavesPerEU: 22
; NumVGPRsForWavesPerEU: 10
; NamedBarCnt: 0
; Occupancy: 16
; WaveLimiterHint : 0
; COMPUTE_PGM_RSRC2:SCRATCH_EN: 0
; COMPUTE_PGM_RSRC2:USER_SGPR: 2
; COMPUTE_PGM_RSRC2:TRAP_HANDLER: 0
; COMPUTE_PGM_RSRC2:TGID_X_EN: 1
; COMPUTE_PGM_RSRC2:TGID_Y_EN: 0
; COMPUTE_PGM_RSRC2:TGID_Z_EN: 0
; COMPUTE_PGM_RSRC2:TIDIG_COMP_CNT: 0
	.section	.text._ZL20generateSpanningTreeiPKiS0_iP8EdgeInfoPiS3_iS3_ii,"axG",@progbits,_ZL20generateSpanningTreeiPKiS0_iP8EdgeInfoPiS3_iS3_ii,comdat
	.globl	_ZL20generateSpanningTreeiPKiS0_iP8EdgeInfoPiS3_iS3_ii ; -- Begin function _ZL20generateSpanningTreeiPKiS0_iP8EdgeInfoPiS3_iS3_ii
	.p2align	8
	.type	_ZL20generateSpanningTreeiPKiS0_iP8EdgeInfoPiS3_iS3_ii,@function
_ZL20generateSpanningTreeiPKiS0_iP8EdgeInfoPiS3_iS3_ii: ; @_ZL20generateSpanningTreeiPKiS0_iP8EdgeInfoPiS3_iS3_ii
; %bb.0:
	s_bfe_u32 s4, ttmp6, 0x4000c
	s_load_b64 s[2:3], s[0:1], 0x48
	s_add_co_i32 s4, s4, 1
	s_and_b32 s5, ttmp6, 15
	s_mul_i32 s4, ttmp9, s4
	s_getreg_b32 s6, hwreg(HW_REG_IB_STS2, 6, 4)
	s_add_co_i32 s5, s5, s4
	s_cmp_eq_u32 s6, 0
	s_mov_b32 s14, 0
	s_cselect_b32 s4, ttmp9, s5
	s_delay_alu instid0(SALU_CYCLE_1) | instskip(NEXT) | instid1(VALU_DEP_1)
	v_lshl_add_u32 v1, s4, 8, v0
	v_lshrrev_b32_e32 v1, 5, v1
	s_wait_kmcnt 0x0
	s_delay_alu instid0(VALU_DEP_1) | instskip(SKIP_1) | instid1(VALU_DEP_1)
	v_add_nc_u32_e32 v8, s2, v1
	s_mov_b32 s2, exec_lo
	v_cmpx_gt_i32_e64 s3, v8
	s_cbranch_execz .LBB2_24
; %bb.1:
	s_clause 0x5
	s_load_b32 s2, s[0:1], 0x50
	s_load_b32 s16, s[0:1], 0x18
	;; [unrolled: 1-line block ×3, first 2 shown]
	s_load_b128 s[4:7], s[0:1], 0x8
	s_load_b128 s[8:11], s[0:1], 0x28
	s_load_b64 s[12:13], s[0:1], 0x40
	v_dual_mov_b32 v10, -4 :: v_dual_bitop2_b32 v1, 31, v0 bitop3:0x40
	v_bitop3_b32 v9, v0, 31, v0 bitop3:0x3f
	v_mov_b32_e32 v11, 0
	s_delay_alu instid0(VALU_DEP_3)
	v_cmp_eq_u32_e32 vcc_lo, 0, v1
	s_wait_kmcnt 0x0
	s_lshl_b32 s0, s2, 3
	s_add_co_i32 s1, s16, 1
	s_and_b32 s2, s15, 1
	s_and_b32 s15, s0, 0x7fffff8
	s_mul_i32 s16, s1, s16
	s_or_b32 s17, s2, 2
	s_branch .LBB2_3
.LBB2_2:                                ;   in Loop: Header=BB2_3 Depth=1
	s_or_b32 exec_lo, exec_lo, s18
	v_add_nc_u32_e32 v8, s15, v8
	s_delay_alu instid0(VALU_DEP_1) | instskip(SKIP_1) | instid1(SALU_CYCLE_1)
	v_cmp_le_i32_e64 s0, s3, v8
	s_or_b32 s14, s0, s14
	s_and_not1_b32 exec_lo, exec_lo, s14
	s_cbranch_execz .LBB2_24
.LBB2_3:                                ; =>This Loop Header: Depth=1
                                        ;     Child Loop BB2_10 Depth 2
                                        ;       Child Loop BB2_12 Depth 3
	global_load_b32 v2, v8, s[10:11] scale_offset
	s_wait_loadcnt 0x0
	v_ashrrev_i32_e32 v3, 31, v2
	s_wait_xcnt 0x0
	s_and_saveexec_b32 s0, vcc_lo
	s_cbranch_execz .LBB2_5
; %bb.4:                                ;   in Loop: Header=BB2_3 Depth=1
	s_delay_alu instid0(VALU_DEP_1)
	v_lshl_add_u64 v[0:1], v[2:3], 2, s[8:9]
	global_atomic_and_b32 v[0:1], v10, off scope:SCOPE_DEV
.LBB2_5:                                ;   in Loop: Header=BB2_3 Depth=1
	s_wait_xcnt 0x0
	s_or_b32 exec_lo, exec_lo, s0
	v_lshl_add_u64 v[0:1], v[2:3], 2, s[4:5]
	s_mov_b32 s18, exec_lo
	global_load_b64 v[0:1], v[0:1], off
	s_wait_loadcnt 0x0
	v_add_nc_u32_e32 v1, v1, v9
	s_delay_alu instid0(VALU_DEP_1)
	v_cmpx_ge_i32_e64 v1, v0
	s_cbranch_execz .LBB2_2
; %bb.6:                                ;   in Loop: Header=BB2_3 Depth=1
	v_lshl_or_b32 v2, v2, 2, s17
	s_mov_b32 s19, 0
	s_branch .LBB2_10
.LBB2_7:                                ;   in Loop: Header=BB2_10 Depth=2
	s_wait_xcnt 0x0
	s_or_b32 exec_lo, exec_lo, s20
	s_wait_loadcnt 0x0
	v_readfirstlane_b32 s0, v5
	s_delay_alu instid0(VALU_DEP_1)
	v_add_nc_u32_e32 v3, s0, v3
	global_store_b32 v3, v4, s[10:11] scale_offset
.LBB2_8:                                ;   in Loop: Header=BB2_10 Depth=2
	s_wait_xcnt 0x0
	s_or_b32 exec_lo, exec_lo, s2
.LBB2_9:                                ;   in Loop: Header=BB2_10 Depth=2
	s_delay_alu instid0(SALU_CYCLE_1) | instskip(SKIP_1) | instid1(VALU_DEP_1)
	s_or_b32 exec_lo, exec_lo, s1
	v_subrev_nc_u32_e32 v1, 32, v1
	v_cmp_lt_i32_e64 s0, v1, v0
	s_or_b32 s19, s0, s19
	s_delay_alu instid0(SALU_CYCLE_1)
	s_and_not1_b32 exec_lo, exec_lo, s19
	s_cbranch_execz .LBB2_2
.LBB2_10:                               ;   Parent Loop BB2_3 Depth=1
                                        ; =>  This Loop Header: Depth=2
                                        ;       Child Loop BB2_12 Depth 3
	global_load_b32 v3, v1, s[6:7] scale_offset
	s_mov_b32 s21, 0
                                        ; implicit-def: $sgpr20
                                        ; implicit-def: $sgpr23
                                        ; implicit-def: $sgpr22
	s_wait_loadcnt 0x0
	v_ashrrev_i32_e32 v4, 1, v3
	s_delay_alu instid0(VALU_DEP_1) | instskip(NEXT) | instid1(VALU_DEP_1)
	v_xor_b32_e32 v12, s16, v4
	v_xor_b32_e32 v3, v12, v2
	s_delay_alu instid0(VALU_DEP_1) | instskip(NEXT) | instid1(VALU_DEP_1)
	v_lshrrev_b32_e32 v5, 16, v3
	v_xor_b32_e32 v3, v5, v3
	s_delay_alu instid0(VALU_DEP_1) | instskip(NEXT) | instid1(VALU_DEP_1)
	v_mul_lo_u32 v3, 0x45d9f3b, v3
	v_lshrrev_b32_e32 v5, 16, v3
	s_delay_alu instid0(VALU_DEP_1) | instskip(NEXT) | instid1(VALU_DEP_1)
	v_dual_ashrrev_i32 v5, 31, v4 :: v_dual_bitop2_b32 v3, v5, v3 bitop3:0x14
	v_mul_lo_u32 v3, 0x45d9f3b, v3
	s_delay_alu instid0(VALU_DEP_1) | instskip(NEXT) | instid1(VALU_DEP_1)
	v_lshrrev_b32_e32 v6, 16, v3
	v_xor_b32_e32 v13, v6, v3
	s_delay_alu instid0(VALU_DEP_4)
	v_lshl_add_u64 v[6:7], v[4:5], 2, s[8:9]
	s_branch .LBB2_12
.LBB2_11:                               ;   in Loop: Header=BB2_12 Depth=3
	s_wait_xcnt 0x0
	s_or_b32 exec_lo, exec_lo, s2
	s_delay_alu instid0(SALU_CYCLE_1) | instskip(NEXT) | instid1(SALU_CYCLE_1)
	s_and_b32 s1, exec_lo, s24
	s_or_b32 s21, s1, s21
	s_and_not1_b32 s1, s23, exec_lo
	s_and_b32 s2, s22, exec_lo
	s_and_not1_b32 s20, s20, exec_lo
	s_and_b32 s0, s0, exec_lo
	s_or_b32 s23, s1, s2
	s_or_b32 s20, s20, s0
	s_and_not1_b32 exec_lo, exec_lo, s21
	s_cbranch_execz .LBB2_20
.LBB2_12:                               ;   Parent Loop BB2_3 Depth=1
                                        ;     Parent Loop BB2_10 Depth=2
                                        ; =>    This Inner Loop Header: Depth=3
	global_load_b32 v3, v[6:7], off scope:SCOPE_SYS
	s_mov_b32 s24, -1
	s_mov_b32 s26, -1
	s_mov_b32 s25, exec_lo
	s_wait_loadcnt 0x0
	v_cmp_gt_i32_e64 s0, 0, v3
	s_wait_xcnt 0x0
	v_cmpx_lt_i32_e32 -1, v3
	s_cbranch_execz .LBB2_18
; %bb.13:                               ;   in Loop: Header=BB2_12 Depth=3
	v_and_b32_e32 v5, 3, v3
	s_mov_b32 s2, 0
	s_mov_b32 s26, exec_lo
	s_delay_alu instid0(VALU_DEP_1)
	v_cmpx_eq_u32_e64 s17, v5
	s_cbranch_execz .LBB2_17
; %bb.14:                               ;   in Loop: Header=BB2_12 Depth=3
	v_xor_b32_e32 v5, v3, v12
	s_mov_b32 s28, exec_lo
	s_delay_alu instid0(VALU_DEP_1) | instskip(NEXT) | instid1(VALU_DEP_1)
	v_lshrrev_b32_e32 v14, 16, v5
	v_xor_b32_e32 v5, v14, v5
	s_delay_alu instid0(VALU_DEP_1) | instskip(NEXT) | instid1(VALU_DEP_1)
	v_mul_lo_u32 v5, 0x45d9f3b, v5
	v_lshrrev_b32_e32 v14, 16, v5
	s_delay_alu instid0(VALU_DEP_1) | instskip(NEXT) | instid1(VALU_DEP_1)
	v_xor_b32_e32 v5, v14, v5
	v_mul_lo_u32 v5, 0x45d9f3b, v5
	s_delay_alu instid0(VALU_DEP_1) | instskip(NEXT) | instid1(VALU_DEP_1)
	v_lshrrev_b32_e32 v14, 16, v5
	v_xor_b32_e32 v5, v14, v5
	s_delay_alu instid0(VALU_DEP_1)
	v_cmp_lt_i32_e64 s27, v5, v13
	v_cmpx_ge_i32_e64 v5, v13
; %bb.15:                               ;   in Loop: Header=BB2_12 Depth=3
	v_cmp_eq_u32_e64 s1, v5, v13
	v_cmp_lt_i32_e64 s2, v3, v2
	s_and_b32 s1, s1, s2
	s_and_not1_b32 s2, s27, exec_lo
	s_and_b32 s1, s1, exec_lo
	s_delay_alu instid0(SALU_CYCLE_1)
	s_or_b32 s27, s2, s1
; %bb.16:                               ;   in Loop: Header=BB2_12 Depth=3
	s_or_b32 exec_lo, exec_lo, s28
	s_delay_alu instid0(SALU_CYCLE_1)
	s_and_b32 s2, s27, exec_lo
.LBB2_17:                               ;   in Loop: Header=BB2_12 Depth=3
	s_or_b32 exec_lo, exec_lo, s26
	s_delay_alu instid0(SALU_CYCLE_1)
	s_or_not1_b32 s26, s2, exec_lo
.LBB2_18:                               ;   in Loop: Header=BB2_12 Depth=3
	s_or_b32 exec_lo, exec_lo, s25
	s_delay_alu instid0(SALU_CYCLE_1)
	s_or_b32 s22, s22, exec_lo
	s_and_saveexec_b32 s2, s26
	s_cbranch_execz .LBB2_11
; %bb.19:                               ;   in Loop: Header=BB2_12 Depth=3
	global_atomic_cmpswap_b32 v5, v[6:7], v[2:3], off th:TH_ATOMIC_RETURN scope:SCOPE_DEV
	s_and_not1_b32 s22, s22, exec_lo
	s_wait_loadcnt 0x0
	v_cmp_eq_u32_e64 s1, v5, v3
	s_or_not1_b32 s24, s1, exec_lo
	s_branch .LBB2_11
.LBB2_20:                               ;   in Loop: Header=BB2_10 Depth=2
	s_or_b32 exec_lo, exec_lo, s21
	s_xor_b32 s0, s23, -1
	s_delay_alu instid0(SALU_CYCLE_1) | instskip(NEXT) | instid1(SALU_CYCLE_1)
	s_and_saveexec_b32 s1, s0
	s_xor_b32 s1, exec_lo, s1
	s_cbranch_execz .LBB2_9
; %bb.21:                               ;   in Loop: Header=BB2_10 Depth=2
	s_and_saveexec_b32 s2, s20
	s_cbranch_execz .LBB2_8
; %bb.22:                               ;   in Loop: Header=BB2_10 Depth=2
	s_mov_b32 s21, exec_lo
	s_mov_b32 s20, exec_lo
	v_mbcnt_lo_u32_b32 v3, s21, 0
                                        ; implicit-def: $vgpr5
	s_delay_alu instid0(VALU_DEP_1)
	v_cmpx_eq_u32_e32 0, v3
	s_cbranch_execz .LBB2_7
; %bb.23:                               ;   in Loop: Header=BB2_10 Depth=2
	s_bcnt1_i32_b32 s0, s21
	s_delay_alu instid0(SALU_CYCLE_1)
	v_mov_b32_e32 v5, s0
	global_atomic_add_u32 v5, v11, v5, s[12:13] th:TH_ATOMIC_RETURN scope:SCOPE_DEV
	s_branch .LBB2_7
.LBB2_24:
	s_endpgm
	.section	.rodata,"a",@progbits
	.p2align	6, 0x0
	.amdhsa_kernel _ZL20generateSpanningTreeiPKiS0_iP8EdgeInfoPiS3_iS3_ii
		.amdhsa_group_segment_fixed_size 0
		.amdhsa_private_segment_fixed_size 0
		.amdhsa_kernarg_size 336
		.amdhsa_user_sgpr_count 2
		.amdhsa_user_sgpr_dispatch_ptr 0
		.amdhsa_user_sgpr_queue_ptr 0
		.amdhsa_user_sgpr_kernarg_segment_ptr 1
		.amdhsa_user_sgpr_dispatch_id 0
		.amdhsa_user_sgpr_kernarg_preload_length 0
		.amdhsa_user_sgpr_kernarg_preload_offset 0
		.amdhsa_user_sgpr_private_segment_size 0
		.amdhsa_wavefront_size32 1
		.amdhsa_uses_dynamic_stack 0
		.amdhsa_enable_private_segment 0
		.amdhsa_system_sgpr_workgroup_id_x 1
		.amdhsa_system_sgpr_workgroup_id_y 0
		.amdhsa_system_sgpr_workgroup_id_z 0
		.amdhsa_system_sgpr_workgroup_info 0
		.amdhsa_system_vgpr_workitem_id 0
		.amdhsa_next_free_vgpr 15
		.amdhsa_next_free_sgpr 29
		.amdhsa_named_barrier_count 0
		.amdhsa_reserve_vcc 1
		.amdhsa_float_round_mode_32 0
		.amdhsa_float_round_mode_16_64 0
		.amdhsa_float_denorm_mode_32 3
		.amdhsa_float_denorm_mode_16_64 3
		.amdhsa_fp16_overflow 0
		.amdhsa_memory_ordered 1
		.amdhsa_forward_progress 1
		.amdhsa_inst_pref_size 8
		.amdhsa_round_robin_scheduling 0
		.amdhsa_exception_fp_ieee_invalid_op 0
		.amdhsa_exception_fp_denorm_src 0
		.amdhsa_exception_fp_ieee_div_zero 0
		.amdhsa_exception_fp_ieee_overflow 0
		.amdhsa_exception_fp_ieee_underflow 0
		.amdhsa_exception_fp_ieee_inexact 0
		.amdhsa_exception_int_div_zero 0
	.end_amdhsa_kernel
	.section	.text._ZL20generateSpanningTreeiPKiS0_iP8EdgeInfoPiS3_iS3_ii,"axG",@progbits,_ZL20generateSpanningTreeiPKiS0_iP8EdgeInfoPiS3_iS3_ii,comdat
.Lfunc_end2:
	.size	_ZL20generateSpanningTreeiPKiS0_iP8EdgeInfoPiS3_iS3_ii, .Lfunc_end2-_ZL20generateSpanningTreeiPKiS0_iP8EdgeInfoPiS3_iS3_ii
                                        ; -- End function
	.set _ZL20generateSpanningTreeiPKiS0_iP8EdgeInfoPiS3_iS3_ii.num_vgpr, 15
	.set _ZL20generateSpanningTreeiPKiS0_iP8EdgeInfoPiS3_iS3_ii.num_agpr, 0
	.set _ZL20generateSpanningTreeiPKiS0_iP8EdgeInfoPiS3_iS3_ii.numbered_sgpr, 29
	.set _ZL20generateSpanningTreeiPKiS0_iP8EdgeInfoPiS3_iS3_ii.num_named_barrier, 0
	.set _ZL20generateSpanningTreeiPKiS0_iP8EdgeInfoPiS3_iS3_ii.private_seg_size, 0
	.set _ZL20generateSpanningTreeiPKiS0_iP8EdgeInfoPiS3_iS3_ii.uses_vcc, 1
	.set _ZL20generateSpanningTreeiPKiS0_iP8EdgeInfoPiS3_iS3_ii.uses_flat_scratch, 0
	.set _ZL20generateSpanningTreeiPKiS0_iP8EdgeInfoPiS3_iS3_ii.has_dyn_sized_stack, 0
	.set _ZL20generateSpanningTreeiPKiS0_iP8EdgeInfoPiS3_iS3_ii.has_recursion, 0
	.set _ZL20generateSpanningTreeiPKiS0_iP8EdgeInfoPiS3_iS3_ii.has_indirect_call, 0
	.section	.AMDGPU.csdata,"",@progbits
; Kernel info:
; codeLenInByte = 1004
; TotalNumSgprs: 31
; NumVgprs: 15
; ScratchSize: 0
; MemoryBound: 0
; FloatMode: 240
; IeeeMode: 1
; LDSByteSize: 0 bytes/workgroup (compile time only)
; SGPRBlocks: 0
; VGPRBlocks: 0
; NumSGPRsForWavesPerEU: 31
; NumVGPRsForWavesPerEU: 15
; NamedBarCnt: 0
; Occupancy: 16
; WaveLimiterHint : 1
; COMPUTE_PGM_RSRC2:SCRATCH_EN: 0
; COMPUTE_PGM_RSRC2:USER_SGPR: 2
; COMPUTE_PGM_RSRC2:TRAP_HANDLER: 0
; COMPUTE_PGM_RSRC2:TGID_X_EN: 1
; COMPUTE_PGM_RSRC2:TGID_Y_EN: 0
; COMPUTE_PGM_RSRC2:TGID_Z_EN: 0
; COMPUTE_PGM_RSRC2:TIDIG_COMP_CNT: 0
	.section	.text._ZL9rootcountPKiS0_Piiii,"axG",@progbits,_ZL9rootcountPKiS0_Piiii,comdat
	.globl	_ZL9rootcountPKiS0_Piiii        ; -- Begin function _ZL9rootcountPKiS0_Piiii
	.p2align	8
	.type	_ZL9rootcountPKiS0_Piiii,@function
_ZL9rootcountPKiS0_Piiii:               ; @_ZL9rootcountPKiS0_Piiii
; %bb.0:
	s_load_b64 s[2:3], s[0:1], 0x1c
	s_bfe_u32 s4, ttmp6, 0x4000c
	s_and_b32 s5, ttmp6, 15
	s_add_co_i32 s4, s4, 1
	s_getreg_b32 s6, hwreg(HW_REG_IB_STS2, 6, 4)
	s_mul_i32 s4, ttmp9, s4
	s_delay_alu instid0(SALU_CYCLE_1) | instskip(SKIP_2) | instid1(SALU_CYCLE_1)
	s_add_co_i32 s5, s5, s4
	s_cmp_eq_u32 s6, 0
	s_cselect_b32 s4, ttmp9, s5
	s_lshl_b32 s4, s4, 8
	s_wait_kmcnt 0x0
	v_add3_u32 v0, s2, s4, v0
	s_mov_b32 s2, 0
	s_mov_b32 s4, exec_lo
	s_delay_alu instid0(VALU_DEP_1)
	v_cmpx_gt_i32_e64 s3, v0
	s_cbranch_execz .LBB3_3
; %bb.1:
	s_clause 0x2
	s_load_b32 s10, s[0:1], 0x28
	s_load_b128 s[4:7], s[0:1], 0x0
	s_load_b64 s[8:9], s[0:1], 0x10
	v_ashrrev_i32_e32 v1, 31, v0
	s_wait_kmcnt 0x0
	s_lshl_b32 s0, s10, 8
	s_delay_alu instid0(VALU_DEP_1) | instskip(SKIP_1) | instid1(SALU_CYCLE_1)
	v_lshl_add_u64 v[2:3], v[0:1], 2, s[6:7]
	s_ashr_i32 s1, s0, 31
	s_lshl_b64 s[6:7], s[0:1], 2
.LBB3_2:                                ; =>This Inner Loop Header: Depth=1
	global_load_b32 v1, v[2:3], off
	v_add_nc_u32_e32 v0, s0, v0
	s_wait_xcnt 0x0
	v_add_nc_u64_e32 v[2:3], s[6:7], v[2:3]
	s_wait_loadcnt 0x0
	s_clause 0x1
	global_load_b32 v4, v1, s[4:5] scale_offset
	global_load_b32 v5, v1, s[8:9] scale_offset
	v_cmp_le_i32_e32 vcc_lo, s3, v0
	s_or_b32 s2, vcc_lo, s2
	s_wait_loadcnt 0x1
	s_wait_xcnt 0x0
	v_ashrrev_i32_e32 v1, 2, v4
	s_wait_loadcnt 0x0
	global_atomic_add_u32 v1, v5, s[8:9] scale_offset scope:SCOPE_DEV
	s_wait_xcnt 0x0
	s_and_not1_b32 exec_lo, exec_lo, s2
	s_cbranch_execnz .LBB3_2
.LBB3_3:
	s_endpgm
	.section	.rodata,"a",@progbits
	.p2align	6, 0x0
	.amdhsa_kernel _ZL9rootcountPKiS0_Piiii
		.amdhsa_group_segment_fixed_size 0
		.amdhsa_private_segment_fixed_size 0
		.amdhsa_kernarg_size 296
		.amdhsa_user_sgpr_count 2
		.amdhsa_user_sgpr_dispatch_ptr 0
		.amdhsa_user_sgpr_queue_ptr 0
		.amdhsa_user_sgpr_kernarg_segment_ptr 1
		.amdhsa_user_sgpr_dispatch_id 0
		.amdhsa_user_sgpr_kernarg_preload_length 0
		.amdhsa_user_sgpr_kernarg_preload_offset 0
		.amdhsa_user_sgpr_private_segment_size 0
		.amdhsa_wavefront_size32 1
		.amdhsa_uses_dynamic_stack 0
		.amdhsa_enable_private_segment 0
		.amdhsa_system_sgpr_workgroup_id_x 1
		.amdhsa_system_sgpr_workgroup_id_y 0
		.amdhsa_system_sgpr_workgroup_id_z 0
		.amdhsa_system_sgpr_workgroup_info 0
		.amdhsa_system_vgpr_workitem_id 0
		.amdhsa_next_free_vgpr 6
		.amdhsa_next_free_sgpr 11
		.amdhsa_named_barrier_count 0
		.amdhsa_reserve_vcc 1
		.amdhsa_float_round_mode_32 0
		.amdhsa_float_round_mode_16_64 0
		.amdhsa_float_denorm_mode_32 3
		.amdhsa_float_denorm_mode_16_64 3
		.amdhsa_fp16_overflow 0
		.amdhsa_memory_ordered 1
		.amdhsa_forward_progress 1
		.amdhsa_inst_pref_size 2
		.amdhsa_round_robin_scheduling 0
		.amdhsa_exception_fp_ieee_invalid_op 0
		.amdhsa_exception_fp_denorm_src 0
		.amdhsa_exception_fp_ieee_div_zero 0
		.amdhsa_exception_fp_ieee_overflow 0
		.amdhsa_exception_fp_ieee_underflow 0
		.amdhsa_exception_fp_ieee_inexact 0
		.amdhsa_exception_int_div_zero 0
	.end_amdhsa_kernel
	.section	.text._ZL9rootcountPKiS0_Piiii,"axG",@progbits,_ZL9rootcountPKiS0_Piiii,comdat
.Lfunc_end3:
	.size	_ZL9rootcountPKiS0_Piiii, .Lfunc_end3-_ZL9rootcountPKiS0_Piiii
                                        ; -- End function
	.set _ZL9rootcountPKiS0_Piiii.num_vgpr, 6
	.set _ZL9rootcountPKiS0_Piiii.num_agpr, 0
	.set _ZL9rootcountPKiS0_Piiii.numbered_sgpr, 11
	.set _ZL9rootcountPKiS0_Piiii.num_named_barrier, 0
	.set _ZL9rootcountPKiS0_Piiii.private_seg_size, 0
	.set _ZL9rootcountPKiS0_Piiii.uses_vcc, 1
	.set _ZL9rootcountPKiS0_Piiii.uses_flat_scratch, 0
	.set _ZL9rootcountPKiS0_Piiii.has_dyn_sized_stack, 0
	.set _ZL9rootcountPKiS0_Piiii.has_recursion, 0
	.set _ZL9rootcountPKiS0_Piiii.has_indirect_call, 0
	.section	.AMDGPU.csdata,"",@progbits
; Kernel info:
; codeLenInByte = 256
; TotalNumSgprs: 13
; NumVgprs: 6
; ScratchSize: 0
; MemoryBound: 0
; FloatMode: 240
; IeeeMode: 1
; LDSByteSize: 0 bytes/workgroup (compile time only)
; SGPRBlocks: 0
; VGPRBlocks: 0
; NumSGPRsForWavesPerEU: 13
; NumVGPRsForWavesPerEU: 6
; NamedBarCnt: 0
; Occupancy: 16
; WaveLimiterHint : 1
; COMPUTE_PGM_RSRC2:SCRATCH_EN: 0
; COMPUTE_PGM_RSRC2:USER_SGPR: 2
; COMPUTE_PGM_RSRC2:TRAP_HANDLER: 0
; COMPUTE_PGM_RSRC2:TGID_X_EN: 1
; COMPUTE_PGM_RSRC2:TGID_Y_EN: 0
; COMPUTE_PGM_RSRC2:TGID_Z_EN: 0
; COMPUTE_PGM_RSRC2:TIDIG_COMP_CNT: 0
	.section	.text._ZL9treelabeliPKiPViP8EdgeInfoS2_S2_S0_S0_Piiii,"axG",@progbits,_ZL9treelabeliPKiPViP8EdgeInfoS2_S2_S0_S0_Piiii,comdat
	.globl	_ZL9treelabeliPKiPViP8EdgeInfoS2_S2_S0_S0_Piiii ; -- Begin function _ZL9treelabeliPKiPViP8EdgeInfoS2_S2_S0_S0_Piiii
	.p2align	8
	.type	_ZL9treelabeliPKiPViP8EdgeInfoS2_S2_S0_S0_Piiii,@function
_ZL9treelabeliPKiPViP8EdgeInfoS2_S2_S0_S0_Piiii: ; @_ZL9treelabeliPKiPViP8EdgeInfoS2_S2_S0_S0_Piiii
; %bb.0:
	s_bfe_u32 s2, ttmp6, 0x4000c
	s_load_b64 s[6:7], s[0:1], 0x4c
	s_add_co_i32 s2, s2, 1
	s_and_b32 s3, ttmp6, 15
	s_mul_i32 s2, ttmp9, s2
	s_getreg_b32 s4, hwreg(HW_REG_IB_STS2, 6, 4)
	s_add_co_i32 s3, s3, s2
	s_cmp_eq_u32 s4, 0
	s_mov_b32 s26, 0
	s_cselect_b32 s2, ttmp9, s3
	s_delay_alu instid0(SALU_CYCLE_1) | instskip(SKIP_1) | instid1(VALU_DEP_1)
	v_lshl_add_u32 v1, s2, 8, v0
	s_mov_b32 s2, exec_lo
	v_lshrrev_b32_e32 v1, 5, v1
	s_wait_kmcnt 0x0
	s_delay_alu instid0(VALU_DEP_1) | instskip(NEXT) | instid1(VALU_DEP_1)
	v_add_nc_u32_e32 v5, s6, v1
	v_cmpx_gt_i32_e64 s7, v5
	s_cbranch_execz .LBB4_65
; %bb.1:
	s_clause 0x2
	s_load_b32 s5, s[0:1], 0x58
	s_load_b256 s[8:15], s[0:1], 0x8
	s_load_b256 s[16:23], s[0:1], 0x28
	v_dual_mov_b32 v2, 0 :: v_dual_bitop2_b32 v32, 31, v0 bitop3:0x40
	v_mbcnt_lo_u32_b32 v33, -1, 0
	v_mov_b32_e32 v1, 0
                                        ; implicit-def: $vgpr34
                                        ; implicit-def: $vgpr35
                                        ; implicit-def: $vgpr36
                                        ; implicit-def: $vgpr40
                                        ; implicit-def: $vgpr37
                                        ; implicit-def: $vgpr38
                                        ; implicit-def: $vgpr39
                                        ; implicit-def: $vgpr41
                                        ; implicit-def: $vgpr42
                                        ; implicit-def: $vgpr8_vgpr9
                                        ; implicit-def: $vgpr10_vgpr11
	s_delay_alu instid0(VALU_DEP_3)
	v_lshlrev_b64_e64 v[6:7], v32, -1
	s_wait_xcnt 0x0
	v_cmp_eq_u32_e64 s0, 0, v32
	v_lshlrev_b32_e32 v3, 20, v33
	v_cmp_gt_u32_e64 s1, 2, v32
	v_cmp_gt_u32_e64 s2, 4, v32
	v_cmp_gt_u32_e64 s3, 8, v32
	v_cmp_gt_u32_e64 s4, 16, v32
	v_add_nc_u64_e32 v[2:3], src_flat_scratch_base_lo, v[2:3]
	v_not_b32_e32 v4, v6
                                        ; implicit-def: $vgpr6_vgpr7
	s_wait_kmcnt 0x0
	s_lshl_b32 s5, s5, 3
	s_add_nc_u64 s[24:25], s[12:13], 4
	s_and_b32 s27, s5, 0x7fffff8
	s_branch .LBB4_3
.LBB4_2:                                ;   in Loop: Header=BB4_3 Depth=1
	s_wait_xcnt 0x0
	s_or_b32 exec_lo, exec_lo, s5
	v_add_nc_u32_e32 v5, s27, v5
	s_delay_alu instid0(VALU_DEP_1) | instskip(SKIP_1) | instid1(SALU_CYCLE_1)
	v_cmp_le_i32_e32 vcc_lo, s7, v5
	s_or_b32 s26, vcc_lo, s26
	s_and_not1_b32 exec_lo, exec_lo, s26
	s_cbranch_execz .LBB4_65
.LBB4_3:                                ; =>This Loop Header: Depth=1
                                        ;     Child Loop BB4_5 Depth 2
                                        ;     Child Loop BB4_21 Depth 2
	;; [unrolled: 1-line block ×4, first 2 shown]
	global_load_b32 v14, v5, s[20:21] scale_offset
	s_wait_loadcnt 0x0
	v_ashrrev_i32_e32 v15, 31, v14
	s_delay_alu instid0(VALU_DEP_1)
	v_lshl_add_u64 v[16:17], v[14:15], 2, s[8:9]
	s_wait_dscnt 0x0
	global_load_b64 v[12:13], v[16:17], off
	s_clause 0x1
	global_load_b32 v43, v14, s[22:23] scale_offset
	global_load_b32 v0, v14, s[18:19] scale_offset
	s_wait_loadcnt 0x1
	s_wait_xcnt 0x2
	v_dual_add_nc_u32 v16, v12, v32 :: v_dual_ashrrev_i32 v20, 1, v43
	s_wait_loadcnt 0x0
	s_delay_alu instid0(VALU_DEP_1) | instskip(SKIP_1) | instid1(VALU_DEP_3)
	v_dual_mov_b32 v0, v16 :: v_dual_ashrrev_i32 v15, 2, v0
	v_ashrrev_i32_e32 v17, 31, v16
	v_add_nc_u32_e32 v24, 1, v20
	s_delay_alu instid0(VALU_DEP_2) | instskip(SKIP_1) | instid1(VALU_DEP_2)
	v_lshl_add_u64 v[18:19], v[16:17], 2, s[10:11]
	v_lshl_add_u64 v[20:21], v[16:17], 3, s[24:25]
	v_mov_b64_e32 v[22:23], v[18:19]
	s_branch .LBB4_5
.LBB4_4:                                ;   in Loop: Header=BB4_5 Depth=2
	s_wait_xcnt 0x0
	s_or_b32 exec_lo, exec_lo, s5
	ds_bpermute_b32 v24, v1, v24 offset:124
	v_add_nc_u64_e32 v[22:23], 0x80, v[22:23]
	v_add_nc_u64_e32 v[20:21], 0x100, v[20:21]
	v_add_nc_u32_e32 v0, 32, v0
.LBB4_5:                                ;   Parent Loop BB4_3 Depth=1
                                        ; =>  This Inner Loop Header: Depth=2
	s_wait_dscnt 0x0
	v_mov_b32_e32 v44, v24
	s_delay_alu instid0(VALU_DEP_2)
	v_cmp_lt_i32_e32 vcc_lo, v0, v13
	s_cbranch_vccz .LBB4_14
; %bb.6:                                ;   in Loop: Header=BB4_5 Depth=2
	v_dual_mov_b32 v25, 0 :: v_dual_mov_b32 v26, -1
	s_mov_b32 s6, 0
	s_wait_xcnt 0x0
	s_and_saveexec_b32 s5, vcc_lo
	s_cbranch_execz .LBB4_12
; %bb.7:                                ;   in Loop: Header=BB4_5 Depth=2
	flat_load_b32 v24, v[22:23] scope:SCOPE_SYS
	s_wait_loadcnt 0x0
	v_mov_b32_e32 v26, v15
	s_mov_b32 s28, 0
	s_mov_b32 s6, exec_lo
	s_wait_dscnt 0x0
	v_dual_mov_b32 v25, 0 :: v_dual_ashrrev_i32 v24, 1, v24
	s_wait_xcnt 0x0
	s_delay_alu instid0(VALU_DEP_1)
	v_cmpx_ne_u32_e64 v24, v15
	s_cbranch_execz .LBB4_11
; %bb.8:                                ;   in Loop: Header=BB4_5 Depth=2
	global_load_b32 v25, v24, s[18:19] scale_offset
	s_wait_loadcnt 0x0
	v_ashrrev_i32_e32 v25, 2, v25
	s_delay_alu instid0(VALU_DEP_1)
	v_cmp_eq_u32_e32 vcc_lo, v25, v14
	v_mov_b32_e32 v25, 0
	s_and_saveexec_b32 s29, vcc_lo
	s_cbranch_execz .LBB4_10
; %bb.9:                                ;   in Loop: Header=BB4_5 Depth=2
	v_ashrrev_i32_e32 v25, 31, v24
	s_mov_b32 s28, exec_lo
	s_delay_alu instid0(VALU_DEP_1)
	v_lshl_add_u64 v[26:27], v[24:25], 2, s[22:23]
	global_load_b32 v25, v[26:27], off
.LBB4_10:                               ;   in Loop: Header=BB4_5 Depth=2
	s_wait_xcnt 0x0
	s_or_b32 exec_lo, exec_lo, s29
	v_mov_b32_e32 v26, v24
	s_and_b32 s28, s28, exec_lo
.LBB4_11:                               ;   in Loop: Header=BB4_5 Depth=2
	s_or_b32 exec_lo, exec_lo, s6
	s_delay_alu instid0(SALU_CYCLE_1)
	s_and_b32 s6, s28, exec_lo
.LBB4_12:                               ;   in Loop: Header=BB4_5 Depth=2
	s_or_b32 exec_lo, exec_lo, s5
	v_dual_add_nc_u32 v24, -1, v33 :: v_dual_add_nc_u32 v27, -2, v33
	v_add_nc_u32_e32 v28, -4, v33
	s_delay_alu instid0(VALU_DEP_2) | instskip(SKIP_1) | instid1(VALU_DEP_4)
	v_cmp_gt_i32_e32 vcc_lo, 0, v24
	v_cndmask_b32_e32 v24, v24, v33, vcc_lo
	v_cmp_gt_i32_e32 vcc_lo, 0, v27
	s_delay_alu instid0(VALU_DEP_2) | instskip(SKIP_1) | instid1(VALU_DEP_2)
	v_dual_cndmask_b32 v27, v27, v33 :: v_dual_lshlrev_b32 v24, 2, v24
	v_cmp_gt_i32_e32 vcc_lo, 0, v28
	v_lshlrev_b32_e32 v27, 2, v27
	s_wait_loadcnt 0x0
	ds_bpermute_b32 v24, v24, v25
	v_cndmask_b32_e32 v28, v28, v33, vcc_lo
	s_delay_alu instid0(VALU_DEP_1) | instskip(SKIP_2) | instid1(VALU_DEP_1)
	v_lshlrev_b32_e32 v28, 2, v28
	s_wait_dscnt 0x0
	v_cndmask_b32_e64 v24, v24, 0, s0
	v_add_nc_u32_e32 v24, v24, v25
	ds_bpermute_b32 v27, v27, v24
	s_wait_dscnt 0x0
	v_cndmask_b32_e64 v27, v27, 0, s1
	s_delay_alu instid0(VALU_DEP_1) | instskip(SKIP_3) | instid1(VALU_DEP_1)
	v_add_nc_u32_e32 v24, v27, v24
	ds_bpermute_b32 v27, v28, v24
	s_wait_dscnt 0x0
	v_cndmask_b32_e64 v27, v27, 0, s2
	v_dual_add_nc_u32 v24, v27, v24 :: v_dual_add_nc_u32 v28, -8, v33
	s_delay_alu instid0(VALU_DEP_1) | instskip(SKIP_1) | instid1(VALU_DEP_1)
	v_cmp_gt_i32_e32 vcc_lo, 0, v28
	v_cndmask_b32_e32 v28, v28, v33, vcc_lo
	v_lshlrev_b32_e32 v28, 2, v28
	ds_bpermute_b32 v27, v28, v24
	v_add_nc_u32_e32 v28, -16, v33
	s_delay_alu instid0(VALU_DEP_1) | instskip(SKIP_3) | instid1(VALU_DEP_1)
	v_cmp_gt_i32_e32 vcc_lo, 0, v28
	v_cndmask_b32_e32 v28, v28, v33, vcc_lo
	s_wait_dscnt 0x0
	v_cndmask_b32_e64 v27, v27, 0, s3
	v_add_nc_u32_e32 v24, v27, v24
	s_delay_alu instid0(VALU_DEP_3) | instskip(SKIP_3) | instid1(VALU_DEP_1)
	v_lshlrev_b32_e32 v27, 2, v28
	ds_bpermute_b32 v27, v27, v24
	s_wait_dscnt 0x0
	v_cndmask_b32_e64 v27, v27, 0, s4
	v_add3_u32 v24, v27, v24, v44
	s_and_saveexec_b32 s5, s6
	s_cbranch_execz .LBB4_4
; %bb.13:                               ;   in Loop: Header=BB4_5 Depth=2
	s_delay_alu instid0(VALU_DEP_1) | instskip(NEXT) | instid1(VALU_DEP_1)
	v_sub_nc_u32_e32 v25, v24, v25
	v_lshlrev_b32_e32 v28, 1, v25
	global_store_b32 v26, v28, s[22:23] scale_offset
	global_load_b32 v25, v[20:21], off
	s_wait_loadcnt 0x0
	v_and_b32_e32 v25, 1, v25
	s_delay_alu instid0(VALU_DEP_1) | instskip(NEXT) | instid1(VALU_DEP_1)
	v_lshl_or_b32 v25, v24, 1, v25
	v_add_nc_u32_e32 v29, -2, v25
	global_store_b64 v[20:21], v[28:29], off offset:-4
	flat_load_b32 v25, v[22:23] scope:SCOPE_SYS
	s_wait_loadcnt_dscnt 0x0
	v_or_b32_e32 v25, 1, v25
	flat_store_b32 v[22:23], v25 scope:SCOPE_SYS
	s_wait_storecnt 0x0
	s_branch .LBB4_4
.LBB4_14:                               ;   in Loop: Header=BB4_5 Depth=2
                                        ; implicit-def: $vgpr24
                                        ; implicit-def: $vgpr0
                                        ; implicit-def: $vgpr22_vgpr23
                                        ; implicit-def: $vgpr20_vgpr21
	s_cbranch_execz .LBB4_5
; %bb.15:                               ;   in Loop: Header=BB4_3 Depth=1
	v_sub_nc_u32_e32 v0, v13, v12
	s_mov_b32 s28, exec_lo
	s_wait_xcnt 0x0
	s_delay_alu instid0(VALU_DEP_1)
	v_cmpx_lt_i32_e32 0, v0
	s_cbranch_execz .LBB4_47
; %bb.16:                               ;   in Loop: Header=BB4_3 Depth=1
	s_mov_b32 s5, exec_lo
	v_cmpx_lt_u32_e32 32, v0
	s_xor_b32 s6, exec_lo, s5
	s_cbranch_execz .LBB4_38
; %bb.17:                               ;   in Loop: Header=BB4_3 Depth=1
	v_lshlrev_b64_e32 v[20:21], 2, v[16:17]
	v_lshl_add_u64 v[22:23], v[16:17], 3, s[12:13]
	v_dual_add_nc_u32 v0, -1, v13 :: v_dual_add_nc_u32 v17, 32, v12
	v_mov_b32_e32 v45, v12
	s_wait_dscnt 0x0
	s_delay_alu instid0(VALU_DEP_4)
	v_add_nc_u64_e32 v[24:25], s[10:11], v[20:21]
	v_add_nc_u64_e32 v[26:27], s[14:15], v[20:21]
	;; [unrolled: 1-line block ×3, first 2 shown]
	global_load_b64 v[20:21], v[22:23], off
	flat_load_b32 v47, v[24:25] scope:SCOPE_SYS
	s_wait_loadcnt 0x0
	flat_load_b32 v48, v[26:27] scope:SCOPE_SYS
	s_wait_loadcnt 0x0
	;; [unrolled: 2-line block ×3, first 2 shown]
	s_wait_xcnt 0x3
	v_mov_b32_e32 v22, 1
	s_branch .LBB4_21
.LBB4_18:                               ;   in Loop: Header=BB4_21 Depth=2
	s_wait_xcnt 0x0
	s_or_b32 exec_lo, exec_lo, s31
.LBB4_19:                               ;   in Loop: Header=BB4_21 Depth=2
	s_delay_alu instid0(SALU_CYCLE_1) | instskip(SKIP_1) | instid1(SALU_CYCLE_1)
	s_or_b32 exec_lo, exec_lo, s30
	s_bcnt1_i32_b32 s5, vcc_lo
	v_add_nc_u32_e32 v17, s5, v17
.LBB4_20:                               ;   in Loop: Header=BB4_21 Depth=2
	s_or_b32 exec_lo, exec_lo, s29
	v_cmp_eq_u32_e32 vcc_lo, 1, v22
	s_cbranch_vccz .LBB4_37
.LBB4_21:                               ;   Parent Loop BB4_3 Depth=1
                                        ; =>  This Inner Loop Header: Depth=2
	s_mov_b32 s5, exec_lo
	s_wait_xcnt 0x0
	s_delay_alu instid0(VALU_DEP_1)
	v_cmpx_eq_u32_e32 1, v22
	s_cbranch_execz .LBB4_25
; %bb.22:                               ;   in Loop: Header=BB4_21 Depth=2
	s_wait_dscnt 0x0
	v_dual_mov_b32 v22, 3 :: v_dual_ashrrev_i32 v23, 1, v47
	s_mov_b32 s29, exec_lo
	s_delay_alu instid0(VALU_DEP_1)
	v_cmpx_ne_u32_e64 v23, v15
	s_cbranch_execz .LBB4_24
; %bb.23:                               ;   in Loop: Header=BB4_21 Depth=2
	global_load_b32 v22, v23, s[18:19] scale_offset
	s_wait_loadcnt 0x0
	v_ashrrev_i32_e32 v22, 2, v22
	s_delay_alu instid0(VALU_DEP_1)
	v_cmp_eq_u32_e32 vcc_lo, v22, v14
	v_cndmask_b32_e64 v22, 3, 2, vcc_lo
.LBB4_24:                               ;   in Loop: Header=BB4_21 Depth=2
	s_or_b32 exec_lo, exec_lo, s29
.LBB4_25:                               ;   in Loop: Header=BB4_21 Depth=2
	s_delay_alu instid0(SALU_CYCLE_1) | instskip(NEXT) | instid1(VALU_DEP_1)
	s_or_b32 exec_lo, exec_lo, s5
	v_cmp_eq_u32_e32 vcc_lo, 2, v22
	s_and_saveexec_b32 s29, vcc_lo
	s_cbranch_execz .LBB4_29
; %bb.26:                               ;   in Loop: Header=BB4_21 Depth=2
	v_and_b32_e32 v22, vcc_lo, v4
	s_mov_b32 s30, exec_lo
	s_delay_alu instid0(VALU_DEP_1) | instskip(NEXT) | instid1(VALU_DEP_1)
	v_bcnt_u32_b32 v22, v22, v45
	v_ashrrev_i32_e32 v23, 31, v22
	s_delay_alu instid0(VALU_DEP_1) | instskip(SKIP_1) | instid1(VALU_DEP_2)
	v_lshlrev_b64_e32 v[28:29], 2, v[22:23]
	v_lshl_add_u64 v[30:31], v[22:23], 3, s[12:13]
	v_add_nc_u64_e32 v[24:25], s[14:15], v[28:29]
	v_add_nc_u64_e32 v[26:27], s[16:17], v[28:29]
	;; [unrolled: 1-line block ×3, first 2 shown]
	v_cmpx_ge_i32_e64 v22, v17
	s_cbranch_execz .LBB4_28
; %bb.27:                               ;   in Loop: Header=BB4_21 Depth=2
	global_load_b64 v[6:7], v[30:31], off
	flat_load_b32 v39, v[24:25] scope:SCOPE_SYS
	s_wait_loadcnt 0x0
	flat_load_b32 v38, v[26:27] scope:SCOPE_SYS
	s_wait_loadcnt 0x0
	;; [unrolled: 2-line block ×3, first 2 shown]
.LBB4_28:                               ;   in Loop: Header=BB4_21 Depth=2
	s_wait_xcnt 0x0
	s_or_b32 exec_lo, exec_lo, s30
	v_cmp_ge_i32_e64 s5, v22, v17
	global_store_b64 v[30:31], v[20:21], off
	s_wait_dscnt 0x1
	flat_store_b32 v[24:25], v48 scope:SCOPE_SYS
	s_wait_storecnt_dscnt 0x1
	flat_store_b32 v[26:27], v46 scope:SCOPE_SYS
	s_wait_storecnt 0x0
	flat_store_b32 v[28:29], v47 scope:SCOPE_SYS
	s_wait_storecnt 0x0
	s_wait_xcnt 0x3
	v_mov_b64_e32 v[20:21], v[6:7]
	s_wait_xcnt 0x1
	v_dual_mov_b32 v46, v38 :: v_dual_mov_b32 v48, v39
	v_cndmask_b32_e64 v22, 0, 1, s5
	s_wait_xcnt 0x0
	v_mov_b32_e32 v47, v37
.LBB4_29:                               ;   in Loop: Header=BB4_21 Depth=2
	s_or_b32 exec_lo, exec_lo, s29
	s_bcnt1_i32_b32 s5, vcc_lo
	v_cmp_eq_u32_e32 vcc_lo, 3, v22
	v_add_nc_u32_e32 v45, s5, v45
	s_delay_alu instid0(VALU_DEP_1)
	v_max_i32_e32 v17, v17, v45
	s_and_saveexec_b32 s29, vcc_lo
	s_cbranch_execz .LBB4_33
; %bb.30:                               ;   in Loop: Header=BB4_21 Depth=2
	v_and_b32_e32 v22, vcc_lo, v4
	s_mov_b32 s30, exec_lo
	s_delay_alu instid0(VALU_DEP_1) | instskip(NEXT) | instid1(VALU_DEP_1)
	v_bcnt_u32_b32 v22, v22, 0
	v_sub_nc_u32_e32 v22, v0, v22
	s_delay_alu instid0(VALU_DEP_1) | instskip(NEXT) | instid1(VALU_DEP_1)
	v_ashrrev_i32_e32 v23, 31, v22
	v_lshlrev_b64_e32 v[28:29], 2, v[22:23]
	v_lshl_add_u64 v[30:31], v[22:23], 3, s[12:13]
	s_delay_alu instid0(VALU_DEP_2)
	v_add_nc_u64_e32 v[24:25], s[14:15], v[28:29]
	v_add_nc_u64_e32 v[26:27], s[16:17], v[28:29]
	;; [unrolled: 1-line block ×3, first 2 shown]
	v_cmpx_ge_i32_e64 v22, v17
	s_cbranch_execz .LBB4_32
; %bb.31:                               ;   in Loop: Header=BB4_21 Depth=2
	global_load_b64 v[8:9], v[30:31], off
	flat_load_b32 v36, v[24:25] scope:SCOPE_SYS
	s_wait_loadcnt 0x0
	flat_load_b32 v35, v[26:27] scope:SCOPE_SYS
	s_wait_loadcnt 0x0
	;; [unrolled: 2-line block ×3, first 2 shown]
.LBB4_32:                               ;   in Loop: Header=BB4_21 Depth=2
	s_wait_xcnt 0x0
	s_or_b32 exec_lo, exec_lo, s30
	v_cmp_ge_i32_e64 s5, v22, v17
	global_store_b64 v[30:31], v[20:21], off
	s_wait_dscnt 0x1
	flat_store_b32 v[24:25], v48 scope:SCOPE_SYS
	s_wait_storecnt_dscnt 0x1
	flat_store_b32 v[26:27], v46 scope:SCOPE_SYS
	s_wait_storecnt 0x0
	flat_store_b32 v[28:29], v47 scope:SCOPE_SYS
	s_wait_storecnt 0x0
	s_wait_xcnt 0x3
	v_mov_b64_e32 v[20:21], v[8:9]
	s_wait_xcnt 0x1
	v_dual_mov_b32 v46, v35 :: v_dual_mov_b32 v48, v36
	v_cndmask_b32_e64 v22, 0, 1, s5
	s_wait_xcnt 0x0
	v_mov_b32_e32 v47, v34
.LBB4_33:                               ;   in Loop: Header=BB4_21 Depth=2
	s_or_b32 exec_lo, exec_lo, s29
	s_bcnt1_i32_b32 s5, vcc_lo
	s_mov_b32 s29, exec_lo
	v_subrev_nc_u32_e32 v0, s5, v0
	s_delay_alu instid0(VALU_DEP_1)
	v_cmpx_le_i32_e64 v17, v0
	s_cbranch_execz .LBB4_20
; %bb.34:                               ;   in Loop: Header=BB4_21 Depth=2
	v_cmp_eq_u32_e32 vcc_lo, 0, v22
	s_and_saveexec_b32 s30, vcc_lo
	s_cbranch_execz .LBB4_19
; %bb.35:                               ;   in Loop: Header=BB4_21 Depth=2
	v_and_b32_e32 v22, vcc_lo, v4
	s_mov_b32 s31, exec_lo
	s_delay_alu instid0(VALU_DEP_1) | instskip(SKIP_1) | instid1(VALU_DEP_2)
	v_bcnt_u32_b32 v23, v22, v17
	v_mov_b32_e32 v22, 0
	v_cmpx_le_i32_e64 v23, v0
	s_cbranch_execz .LBB4_18
; %bb.36:                               ;   in Loop: Header=BB4_21 Depth=2
	global_load_b64 v[20:21], v23, s[12:13] scale_offset
	s_wait_dscnt 0x1
	flat_load_b32 v48, v23, s[14:15] scale_offset scope:SCOPE_SYS
	s_wait_loadcnt_dscnt 0x1
	flat_load_b32 v46, v23, s[16:17] scale_offset scope:SCOPE_SYS
	s_wait_loadcnt 0x0
	flat_load_b32 v47, v23, s[10:11] scale_offset scope:SCOPE_SYS
	s_wait_loadcnt 0x0
	v_mov_b32_e32 v22, 1
	s_branch .LBB4_18
.LBB4_37:                               ;   in Loop: Header=BB4_3 Depth=1
                                        ; implicit-def: $vgpr0
.LBB4_38:                               ;   in Loop: Header=BB4_3 Depth=1
	s_and_not1_saveexec_b32 s29, s6
	s_cbranch_execz .LBB4_46
; %bb.39:                               ;   in Loop: Header=BB4_3 Depth=1
	v_mov_b32_e32 v20, 0
	s_mov_b32 s5, exec_lo
	v_cmpx_lt_i32_e64 v32, v0
	s_cbranch_execz .LBB4_43
; %bb.40:                               ;   in Loop: Header=BB4_3 Depth=1
	v_lshlrev_b64_e32 v[10:11], 2, v[16:17]
	v_lshl_add_u64 v[20:21], v[16:17], 3, s[12:13]
	s_mov_b32 s6, exec_lo
	s_delay_alu instid0(VALU_DEP_2)
	v_add_nc_u64_e32 v[22:23], s[14:15], v[10:11]
	s_wait_dscnt 0x0
	v_add_nc_u64_e32 v[24:25], s[16:17], v[10:11]
	v_add_nc_u64_e32 v[26:27], s[10:11], v[10:11]
	global_load_b64 v[10:11], v[20:21], off
	flat_load_b32 v40, v[22:23] scope:SCOPE_SYS
	s_wait_loadcnt 0x0
	flat_load_b32 v41, v[24:25] scope:SCOPE_SYS
	s_wait_loadcnt 0x0
	flat_load_b32 v42, v[26:27] scope:SCOPE_SYS
	s_wait_loadcnt_dscnt 0x0
	v_dual_mov_b32 v20, 3 :: v_dual_ashrrev_i32 v17, 1, v42
	s_delay_alu instid0(VALU_DEP_1)
	v_cmpx_ne_u32_e64 v17, v15
	s_cbranch_execz .LBB4_42
; %bb.41:                               ;   in Loop: Header=BB4_3 Depth=1
	global_load_b32 v17, v17, s[18:19] scale_offset
	s_wait_loadcnt 0x0
	v_ashrrev_i32_e32 v17, 2, v17
	s_delay_alu instid0(VALU_DEP_1)
	v_cmp_eq_u32_e32 vcc_lo, v17, v14
	v_cndmask_b32_e64 v20, 3, 2, vcc_lo
.LBB4_42:                               ;   in Loop: Header=BB4_3 Depth=1
	s_or_b32 exec_lo, exec_lo, s6
.LBB4_43:                               ;   in Loop: Header=BB4_3 Depth=1
	s_delay_alu instid0(SALU_CYCLE_1) | instskip(NEXT) | instid1(VALU_DEP_1)
	s_or_b32 exec_lo, exec_lo, s5
	v_cmp_eq_u32_e64 s5, 2, v20
	s_mov_b32 s30, exec_lo
	v_cmp_eq_u32_e32 vcc_lo, 3, v20
	v_cmpx_ne_u32_e32 0, v20
	s_cbranch_execz .LBB4_45
; %bb.44:                               ;   in Loop: Header=BB4_3 Depth=1
	v_and_b32_e32 v17, vcc_lo, v4
	v_and_b32_e32 v20, s5, v4
	s_delay_alu instid0(VALU_DEP_2) | instskip(NEXT) | instid1(VALU_DEP_2)
	v_bcnt_u32_b32 v17, v17, 0
	v_bcnt_u32_b32 v20, v20, 0
	s_delay_alu instid0(VALU_DEP_2) | instskip(NEXT) | instid1(VALU_DEP_1)
	v_xad_u32 v0, v17, -1, v0
	v_cndmask_b32_e32 v0, v20, v0, vcc_lo
	s_delay_alu instid0(VALU_DEP_1)
	v_add_nc_u32_e32 v0, v0, v12
	global_store_b64 v0, v[10:11], s[12:13] scale_offset
	flat_store_b32 v0, v40, s[14:15] scale_offset scope:SCOPE_SYS
	s_wait_storecnt 0x0
	flat_store_b32 v0, v41, s[16:17] scale_offset scope:SCOPE_SYS
	s_wait_storecnt 0x0
	;; [unrolled: 2-line block ×3, first 2 shown]
.LBB4_45:                               ;   in Loop: Header=BB4_3 Depth=1
	s_wait_xcnt 0x0
	s_or_b32 exec_lo, exec_lo, s30
.LBB4_46:                               ;   in Loop: Header=BB4_3 Depth=1
	s_delay_alu instid0(SALU_CYCLE_1)
	s_or_b32 exec_lo, exec_lo, s29
.LBB4_47:                               ;   in Loop: Header=BB4_3 Depth=1
	s_delay_alu instid0(SALU_CYCLE_1)
	s_or_b32 exec_lo, exec_lo, s28
	v_mov_b64_e32 v[20:21], v[18:19]
	v_dual_mov_b32 v0, -1 :: v_dual_mov_b32 v17, v16
	s_branch .LBB4_49
.LBB4_48:                               ;   in Loop: Header=BB4_49 Depth=2
	s_or_b32 exec_lo, exec_lo, s5
	s_delay_alu instid0(VALU_DEP_1) | instskip(SKIP_4) | instid1(SALU_CYCLE_1)
	v_cmp_lt_i32_e32 vcc_lo, -1, v0
	v_add_nc_u64_e32 v[20:21], 0x80, v[20:21]
	v_add_nc_u32_e32 v17, 32, v17
	s_cmp_lg_u32 vcc_lo, 0
	s_cselect_b32 s5, -1, 0
	s_and_b32 vcc_lo, exec_lo, s5
	s_cbranch_vccnz .LBB4_53
.LBB4_49:                               ;   Parent Loop BB4_3 Depth=1
                                        ; =>  This Inner Loop Header: Depth=2
	s_delay_alu instid0(VALU_DEP_1)
	v_cmp_lt_i32_e32 vcc_lo, v17, v13
	s_cbranch_vccz .LBB4_52
; %bb.50:                               ;   in Loop: Header=BB4_49 Depth=2
	s_and_saveexec_b32 s5, vcc_lo
	s_cbranch_execz .LBB4_48
; %bb.51:                               ;   in Loop: Header=BB4_49 Depth=2
	flat_load_b32 v22, v[20:21] scope:SCOPE_SYS
	s_wait_loadcnt_dscnt 0x0
	v_ashrrev_i32_e32 v22, 1, v22
	s_delay_alu instid0(VALU_DEP_1)
	v_cmp_eq_u32_e32 vcc_lo, v22, v15
	v_cndmask_b32_e32 v0, v0, v17, vcc_lo
	s_branch .LBB4_48
.LBB4_52:                               ;   in Loop: Header=BB4_49 Depth=2
                                        ; implicit-def: $vgpr17
                                        ; implicit-def: $vgpr20_vgpr21
	s_cbranch_execz .LBB4_49
.LBB4_53:                               ;   in Loop: Header=BB4_3 Depth=1
	v_mov_b32_e32 v15, -1
	s_branch .LBB4_55
.LBB4_54:                               ;   in Loop: Header=BB4_55 Depth=2
	s_or_b32 exec_lo, exec_lo, s5
	s_delay_alu instid0(VALU_DEP_1) | instskip(SKIP_4) | instid1(SALU_CYCLE_1)
	v_cmp_lt_i32_e32 vcc_lo, -1, v15
	v_add_nc_u64_e32 v[18:19], 0x80, v[18:19]
	v_add_nc_u32_e32 v16, 32, v16
	s_cmp_lg_u32 vcc_lo, 0
	s_cselect_b32 s5, -1, 0
	s_and_b32 vcc_lo, exec_lo, s5
	s_cbranch_vccnz .LBB4_59
.LBB4_55:                               ;   Parent Loop BB4_3 Depth=1
                                        ; =>  This Inner Loop Header: Depth=2
	v_cmp_lt_i32_e32 vcc_lo, v16, v13
	s_cbranch_vccz .LBB4_58
; %bb.56:                               ;   in Loop: Header=BB4_55 Depth=2
	s_and_saveexec_b32 s5, vcc_lo
	s_cbranch_execz .LBB4_54
; %bb.57:                               ;   in Loop: Header=BB4_55 Depth=2
	flat_load_b32 v17, v[18:19] scope:SCOPE_SYS
	s_wait_loadcnt_dscnt 0x0
	v_ashrrev_i32_e32 v17, 1, v17
	global_load_b32 v17, v17, s[18:19] scale_offset
	s_wait_loadcnt 0x0
	v_ashrrev_i32_e32 v17, 2, v17
	s_delay_alu instid0(VALU_DEP_1)
	v_cmp_eq_u32_e32 vcc_lo, v17, v14
	v_cndmask_b32_e32 v15, v16, v15, vcc_lo
	s_branch .LBB4_54
.LBB4_58:                               ;   in Loop: Header=BB4_55 Depth=2
                                        ; implicit-def: $vgpr16
                                        ; implicit-def: $vgpr18_vgpr19
	s_cbranch_execz .LBB4_55
.LBB4_59:                               ;   in Loop: Header=BB4_3 Depth=1
	v_cmp_lt_i32_e32 vcc_lo, -1, v15
	s_ctz_i32_b32 s5, vcc_lo
	s_cmp_lg_u32 vcc_lo, 0
	s_cselect_b32 s5, s5, 31
	s_delay_alu instid0(SALU_CYCLE_1) | instskip(NEXT) | instid1(SALU_CYCLE_1)
	s_lshl_b32 s5, s5, 2
	v_mov_b32_e32 v13, s5
	s_mov_b32 s5, exec_lo
	ds_bpermute_b32 v13, v13, v15
	v_cmpx_lt_i32_e32 -1, v0
	s_cbranch_execz .LBB4_2
; %bb.60:                               ;   in Loop: Header=BB4_3 Depth=1
	v_lshl_add_u64 v[14:15], v[0:1], 3, s[12:13]
	v_lshl_add_u32 v17, v44, 1, -2
	v_cmp_ne_u32_e32 vcc_lo, v0, v12
	global_load_b32 v16, v[14:15], off offset:4
	s_wait_loadcnt 0x0
	v_and_b32_e32 v16, 1, v16
	s_delay_alu instid0(VALU_DEP_1)
	v_or_b32_e32 v17, v16, v17
	v_or_b32_e32 v16, 1, v43
	global_store_b64 v0, v[16:17], s[12:13] scale_offset
	flat_load_b32 v18, v0, s[10:11] scale_offset scope:SCOPE_SYS
	s_wait_loadcnt_dscnt 0x0
	v_or_b32_e32 v18, 1, v18
	flat_store_b32 v0, v18, s[10:11] scale_offset scope:SCOPE_SYS
	s_wait_storecnt 0x0
	s_wait_xcnt 0x0
	s_and_b32 exec_lo, exec_lo, vcc_lo
	s_cbranch_execz .LBB4_2
; %bb.61:                               ;   in Loop: Header=BB4_3 Depth=1
	s_mov_b32 s6, exec_lo
	v_cmpx_ne_u32_e64 v0, v13
	s_cbranch_execz .LBB4_63
; %bb.62:                               ;   in Loop: Header=BB4_3 Depth=1
	flat_load_b32 v20, v13, s[10:11] scale_offset scope:SCOPE_SYS
	s_wait_loadcnt 0x0
	v_lshl_add_u64 v[18:19], v[0:1], 2, s[10:11]
	s_wait_dscnt 0x0
	flat_store_b32 v[2:3], v20 scope:SCOPE_SYS
	s_wait_storecnt 0x0
	flat_load_b32 v20, v[18:19] scope:SCOPE_SYS
	s_wait_loadcnt_dscnt 0x0
	flat_store_b32 v13, v20, s[10:11] scale_offset scope:SCOPE_SYS
	s_wait_storecnt 0x0
	flat_load_b32 v20, v[2:3] scope:SCOPE_SYS
	s_wait_loadcnt_dscnt 0x0
	flat_store_b32 v[18:19], v20 scope:SCOPE_SYS
	s_wait_storecnt 0x0
	s_clause 0x1
	global_load_b64 v[18:19], v13, s[12:13] scale_offset
	global_store_b64 v13, v[16:17], s[12:13] scale_offset
	s_wait_loadcnt 0x0
	global_store_b64 v[14:15], v[18:19], off
	flat_load_b32 v18, v13, s[14:15] scale_offset scope:SCOPE_SYS
	s_wait_loadcnt 0x0
	v_lshlrev_b64_e32 v[14:15], 2, v[0:1]
	s_delay_alu instid0(VALU_DEP_1)
	v_add_nc_u64_e32 v[16:17], s[14:15], v[14:15]
	v_add_nc_u64_e32 v[14:15], s[16:17], v[14:15]
	s_wait_dscnt 0x0
	flat_store_b32 v[2:3], v18 scope:SCOPE_SYS
	s_wait_storecnt 0x0
	flat_load_b32 v0, v[16:17] scope:SCOPE_SYS
	s_wait_loadcnt_dscnt 0x0
	flat_store_b32 v13, v0, s[14:15] scale_offset scope:SCOPE_SYS
	s_wait_storecnt 0x0
	flat_load_b32 v0, v[2:3] scope:SCOPE_SYS
	s_wait_loadcnt_dscnt 0x0
	flat_store_b32 v[16:17], v0 scope:SCOPE_SYS
	s_wait_storecnt 0x0
	flat_load_b32 v0, v13, s[16:17] scale_offset scope:SCOPE_SYS
	s_wait_loadcnt_dscnt 0x0
	flat_store_b32 v[2:3], v0 scope:SCOPE_SYS
	s_wait_storecnt 0x0
	flat_load_b32 v0, v[14:15] scope:SCOPE_SYS
	s_wait_loadcnt_dscnt 0x0
	flat_store_b32 v13, v0, s[16:17] scale_offset scope:SCOPE_SYS
	s_wait_storecnt 0x0
	flat_load_b32 v16, v[2:3] scope:SCOPE_SYS
	s_wait_loadcnt 0x0
	s_wait_xcnt 0x1
	v_mov_b32_e32 v0, v13
	s_wait_dscnt 0x0
	flat_store_b32 v[14:15], v16 scope:SCOPE_SYS
	s_wait_storecnt 0x0
.LBB4_63:                               ;   in Loop: Header=BB4_3 Depth=1
	s_wait_xcnt 0x0
	s_or_b32 exec_lo, exec_lo, s6
	v_cmp_ne_u32_e32 vcc_lo, v0, v12
	s_and_b32 exec_lo, exec_lo, vcc_lo
	s_cbranch_execz .LBB4_2
; %bb.64:                               ;   in Loop: Header=BB4_3 Depth=1
	flat_load_b32 v13, v12, s[10:11] scale_offset scope:SCOPE_SYS
	s_wait_loadcnt_dscnt 0x0
	flat_store_b32 v[2:3], v13 scope:SCOPE_SYS
	s_wait_storecnt 0x0
	flat_load_b32 v13, v0, s[10:11] scale_offset scope:SCOPE_SYS
	s_wait_loadcnt_dscnt 0x0
	flat_store_b32 v12, v13, s[10:11] scale_offset scope:SCOPE_SYS
	s_wait_storecnt 0x0
	flat_load_b32 v13, v[2:3] scope:SCOPE_SYS
	s_wait_loadcnt_dscnt 0x0
	flat_store_b32 v0, v13, s[10:11] scale_offset scope:SCOPE_SYS
	s_wait_storecnt 0x0
	s_clause 0x1
	global_load_b64 v[14:15], v0, s[12:13] scale_offset
	global_load_b64 v[16:17], v12, s[12:13] scale_offset
	s_wait_loadcnt 0x1
	global_store_b64 v12, v[14:15], s[12:13] scale_offset
	s_wait_loadcnt 0x0
	global_store_b64 v0, v[16:17], s[12:13] scale_offset
	flat_load_b32 v13, v12, s[14:15] scale_offset scope:SCOPE_SYS
	s_wait_loadcnt_dscnt 0x0
	flat_store_b32 v[2:3], v13 scope:SCOPE_SYS
	s_wait_storecnt 0x0
	flat_load_b32 v13, v0, s[14:15] scale_offset scope:SCOPE_SYS
	s_wait_loadcnt_dscnt 0x0
	flat_store_b32 v12, v13, s[14:15] scale_offset scope:SCOPE_SYS
	s_wait_storecnt 0x0
	flat_load_b32 v13, v[2:3] scope:SCOPE_SYS
	s_wait_loadcnt_dscnt 0x0
	flat_store_b32 v0, v13, s[14:15] scale_offset scope:SCOPE_SYS
	s_wait_storecnt 0x0
	flat_load_b32 v13, v12, s[16:17] scale_offset scope:SCOPE_SYS
	s_wait_loadcnt_dscnt 0x0
	flat_store_b32 v[2:3], v13 scope:SCOPE_SYS
	s_wait_storecnt 0x0
	flat_load_b32 v13, v0, s[16:17] scale_offset scope:SCOPE_SYS
	s_wait_loadcnt_dscnt 0x0
	flat_store_b32 v12, v13, s[16:17] scale_offset scope:SCOPE_SYS
	s_wait_storecnt 0x0
	flat_load_b32 v12, v[2:3] scope:SCOPE_SYS
	s_wait_loadcnt_dscnt 0x0
	flat_store_b32 v0, v12, s[16:17] scale_offset scope:SCOPE_SYS
	s_wait_storecnt 0x0
	s_branch .LBB4_2
.LBB4_65:
	s_endpgm
	.section	.rodata,"a",@progbits
	.p2align	6, 0x0
	.amdhsa_kernel _ZL9treelabeliPKiPViP8EdgeInfoS2_S2_S0_S0_Piiii
		.amdhsa_group_segment_fixed_size 0
		.amdhsa_private_segment_fixed_size 8
		.amdhsa_kernarg_size 344
		.amdhsa_user_sgpr_count 2
		.amdhsa_user_sgpr_dispatch_ptr 0
		.amdhsa_user_sgpr_queue_ptr 0
		.amdhsa_user_sgpr_kernarg_segment_ptr 1
		.amdhsa_user_sgpr_dispatch_id 0
		.amdhsa_user_sgpr_kernarg_preload_length 0
		.amdhsa_user_sgpr_kernarg_preload_offset 0
		.amdhsa_user_sgpr_private_segment_size 0
		.amdhsa_wavefront_size32 1
		.amdhsa_uses_dynamic_stack 0
		.amdhsa_enable_private_segment 1
		.amdhsa_system_sgpr_workgroup_id_x 1
		.amdhsa_system_sgpr_workgroup_id_y 0
		.amdhsa_system_sgpr_workgroup_id_z 0
		.amdhsa_system_sgpr_workgroup_info 0
		.amdhsa_system_vgpr_workitem_id 0
		.amdhsa_next_free_vgpr 49
		.amdhsa_next_free_sgpr 32
		.amdhsa_named_barrier_count 0
		.amdhsa_reserve_vcc 1
		.amdhsa_float_round_mode_32 0
		.amdhsa_float_round_mode_16_64 0
		.amdhsa_float_denorm_mode_32 3
		.amdhsa_float_denorm_mode_16_64 3
		.amdhsa_fp16_overflow 0
		.amdhsa_memory_ordered 1
		.amdhsa_forward_progress 1
		.amdhsa_inst_pref_size 28
		.amdhsa_round_robin_scheduling 0
		.amdhsa_exception_fp_ieee_invalid_op 0
		.amdhsa_exception_fp_denorm_src 0
		.amdhsa_exception_fp_ieee_div_zero 0
		.amdhsa_exception_fp_ieee_overflow 0
		.amdhsa_exception_fp_ieee_underflow 0
		.amdhsa_exception_fp_ieee_inexact 0
		.amdhsa_exception_int_div_zero 0
	.end_amdhsa_kernel
	.section	.text._ZL9treelabeliPKiPViP8EdgeInfoS2_S2_S0_S0_Piiii,"axG",@progbits,_ZL9treelabeliPKiPViP8EdgeInfoS2_S2_S0_S0_Piiii,comdat
.Lfunc_end4:
	.size	_ZL9treelabeliPKiPViP8EdgeInfoS2_S2_S0_S0_Piiii, .Lfunc_end4-_ZL9treelabeliPKiPViP8EdgeInfoS2_S2_S0_S0_Piiii
                                        ; -- End function
	.set _ZL9treelabeliPKiPViP8EdgeInfoS2_S2_S0_S0_Piiii.num_vgpr, 49
	.set _ZL9treelabeliPKiPViP8EdgeInfoS2_S2_S0_S0_Piiii.num_agpr, 0
	.set _ZL9treelabeliPKiPViP8EdgeInfoS2_S2_S0_S0_Piiii.numbered_sgpr, 32
	.set _ZL9treelabeliPKiPViP8EdgeInfoS2_S2_S0_S0_Piiii.num_named_barrier, 0
	.set _ZL9treelabeliPKiPViP8EdgeInfoS2_S2_S0_S0_Piiii.private_seg_size, 8
	.set _ZL9treelabeliPKiPViP8EdgeInfoS2_S2_S0_S0_Piiii.uses_vcc, 1
	.set _ZL9treelabeliPKiPViP8EdgeInfoS2_S2_S0_S0_Piiii.uses_flat_scratch, 0
	.set _ZL9treelabeliPKiPViP8EdgeInfoS2_S2_S0_S0_Piiii.has_dyn_sized_stack, 0
	.set _ZL9treelabeliPKiPViP8EdgeInfoS2_S2_S0_S0_Piiii.has_recursion, 0
	.set _ZL9treelabeliPKiPViP8EdgeInfoS2_S2_S0_S0_Piiii.has_indirect_call, 0
	.section	.AMDGPU.csdata,"",@progbits
; Kernel info:
; codeLenInByte = 3540
; TotalNumSgprs: 34
; NumVgprs: 49
; ScratchSize: 8
; MemoryBound: 0
; FloatMode: 240
; IeeeMode: 1
; LDSByteSize: 0 bytes/workgroup (compile time only)
; SGPRBlocks: 0
; VGPRBlocks: 3
; NumSGPRsForWavesPerEU: 34
; NumVGPRsForWavesPerEU: 49
; NamedBarCnt: 0
; Occupancy: 16
; WaveLimiterHint : 1
; COMPUTE_PGM_RSRC2:SCRATCH_EN: 1
; COMPUTE_PGM_RSRC2:USER_SGPR: 2
; COMPUTE_PGM_RSRC2:TRAP_HANDLER: 0
; COMPUTE_PGM_RSRC2:TGID_X_EN: 1
; COMPUTE_PGM_RSRC2:TGID_Y_EN: 0
; COMPUTE_PGM_RSRC2:TGID_Z_EN: 0
; COMPUTE_PGM_RSRC2:TIDIG_COMP_CNT: 0
	.section	.text._ZL12inTreeUpdateiPKiPVi,"axG",@progbits,_ZL12inTreeUpdateiPKiPVi,comdat
	.globl	_ZL12inTreeUpdateiPKiPVi        ; -- Begin function _ZL12inTreeUpdateiPKiPVi
	.p2align	8
	.type	_ZL12inTreeUpdateiPKiPVi,@function
_ZL12inTreeUpdateiPKiPVi:               ; @_ZL12inTreeUpdateiPKiPVi
; %bb.0:
	s_load_b32 s8, s[0:1], 0x0
	s_bfe_u32 s2, ttmp6, 0x4000c
	s_and_b32 s3, ttmp6, 15
	s_add_co_i32 s2, s2, 1
	s_getreg_b32 s4, hwreg(HW_REG_IB_STS2, 6, 4)
	s_mul_i32 s2, ttmp9, s2
	s_mov_b32 s9, 0
	s_add_co_i32 s3, s3, s2
	s_cmp_eq_u32 s4, 0
	s_cselect_b32 s2, ttmp9, s3
	s_delay_alu instid0(SALU_CYCLE_1) | instskip(SKIP_2) | instid1(VALU_DEP_1)
	v_lshl_add_u32 v0, s2, 8, v0
	s_mov_b32 s2, exec_lo
	s_wait_kmcnt 0x0
	v_cmpx_gt_i32_e64 s8, v0
	s_cbranch_execz .LBB5_3
; %bb.1:
	s_clause 0x1
	s_load_b32 s2, s[0:1], 0x18
	s_load_b128 s[4:7], s[0:1], 0x8
	v_ashrrev_i32_e32 v1, 31, v0
	s_delay_alu instid0(VALU_DEP_1) | instskip(SKIP_2) | instid1(SALU_CYCLE_1)
	v_lshlrev_b64_e32 v[2:3], 2, v[0:1]
	s_wait_kmcnt 0x0
	s_lshl_b32 s0, s2, 8
	s_ashr_i32 s1, s0, 31
	s_delay_alu instid0(SALU_CYCLE_1)
	s_lshl_b64 s[2:3], s[0:1], 2
.LBB5_2:                                ; =>This Inner Loop Header: Depth=1
	s_delay_alu instid0(VALU_DEP_1)
	v_add_nc_u64_e32 v[4:5], s[4:5], v[2:3]
	v_add_nc_u64_e32 v[6:7], s[6:7], v[2:3]
	;; [unrolled: 1-line block ×3, first 2 shown]
	global_load_b32 v1, v[4:5], off
	flat_load_b32 v8, v[6:7] scope:SCOPE_SYS
	s_wait_loadcnt 0x0
	v_dual_add_nc_u32 v0, s0, v0 :: v_dual_bitop2_b32 v1, 1, v1 bitop3:0x40
	s_delay_alu instid0(VALU_DEP_1) | instskip(SKIP_1) | instid1(VALU_DEP_2)
	v_cmp_le_i32_e32 vcc_lo, s8, v0
	s_wait_dscnt 0x0
	v_add_nc_u32_e32 v1, v8, v1
	s_or_b32 s9, vcc_lo, s9
	flat_store_b32 v[6:7], v1 scope:SCOPE_SYS
	s_wait_storecnt 0x0
	s_wait_xcnt 0x0
	s_and_not1_b32 exec_lo, exec_lo, s9
	s_cbranch_execnz .LBB5_2
.LBB5_3:
	s_endpgm
	.section	.rodata,"a",@progbits
	.p2align	6, 0x0
	.amdhsa_kernel _ZL12inTreeUpdateiPKiPVi
		.amdhsa_group_segment_fixed_size 0
		.amdhsa_private_segment_fixed_size 0
		.amdhsa_kernarg_size 280
		.amdhsa_user_sgpr_count 2
		.amdhsa_user_sgpr_dispatch_ptr 0
		.amdhsa_user_sgpr_queue_ptr 0
		.amdhsa_user_sgpr_kernarg_segment_ptr 1
		.amdhsa_user_sgpr_dispatch_id 0
		.amdhsa_user_sgpr_kernarg_preload_length 0
		.amdhsa_user_sgpr_kernarg_preload_offset 0
		.amdhsa_user_sgpr_private_segment_size 0
		.amdhsa_wavefront_size32 1
		.amdhsa_uses_dynamic_stack 0
		.amdhsa_enable_private_segment 0
		.amdhsa_system_sgpr_workgroup_id_x 1
		.amdhsa_system_sgpr_workgroup_id_y 0
		.amdhsa_system_sgpr_workgroup_id_z 0
		.amdhsa_system_sgpr_workgroup_info 0
		.amdhsa_system_vgpr_workitem_id 0
		.amdhsa_next_free_vgpr 9
		.amdhsa_next_free_sgpr 10
		.amdhsa_named_barrier_count 0
		.amdhsa_reserve_vcc 1
		.amdhsa_float_round_mode_32 0
		.amdhsa_float_round_mode_16_64 0
		.amdhsa_float_denorm_mode_32 3
		.amdhsa_float_denorm_mode_16_64 3
		.amdhsa_fp16_overflow 0
		.amdhsa_memory_ordered 1
		.amdhsa_forward_progress 1
		.amdhsa_inst_pref_size 2
		.amdhsa_round_robin_scheduling 0
		.amdhsa_exception_fp_ieee_invalid_op 0
		.amdhsa_exception_fp_denorm_src 0
		.amdhsa_exception_fp_ieee_div_zero 0
		.amdhsa_exception_fp_ieee_overflow 0
		.amdhsa_exception_fp_ieee_underflow 0
		.amdhsa_exception_fp_ieee_inexact 0
		.amdhsa_exception_int_div_zero 0
	.end_amdhsa_kernel
	.section	.text._ZL12inTreeUpdateiPKiPVi,"axG",@progbits,_ZL12inTreeUpdateiPKiPVi,comdat
.Lfunc_end5:
	.size	_ZL12inTreeUpdateiPKiPVi, .Lfunc_end5-_ZL12inTreeUpdateiPKiPVi
                                        ; -- End function
	.set _ZL12inTreeUpdateiPKiPVi.num_vgpr, 9
	.set _ZL12inTreeUpdateiPKiPVi.num_agpr, 0
	.set _ZL12inTreeUpdateiPKiPVi.numbered_sgpr, 10
	.set _ZL12inTreeUpdateiPKiPVi.num_named_barrier, 0
	.set _ZL12inTreeUpdateiPKiPVi.private_seg_size, 0
	.set _ZL12inTreeUpdateiPKiPVi.uses_vcc, 1
	.set _ZL12inTreeUpdateiPKiPVi.uses_flat_scratch, 0
	.set _ZL12inTreeUpdateiPKiPVi.has_dyn_sized_stack, 0
	.set _ZL12inTreeUpdateiPKiPVi.has_recursion, 0
	.set _ZL12inTreeUpdateiPKiPVi.has_indirect_call, 0
	.section	.AMDGPU.csdata,"",@progbits
; Kernel info:
; codeLenInByte = 240
; TotalNumSgprs: 12
; NumVgprs: 9
; ScratchSize: 0
; MemoryBound: 0
; FloatMode: 240
; IeeeMode: 1
; LDSByteSize: 0 bytes/workgroup (compile time only)
; SGPRBlocks: 0
; VGPRBlocks: 0
; NumSGPRsForWavesPerEU: 12
; NumVGPRsForWavesPerEU: 9
; NamedBarCnt: 0
; Occupancy: 16
; WaveLimiterHint : 0
; COMPUTE_PGM_RSRC2:SCRATCH_EN: 0
; COMPUTE_PGM_RSRC2:USER_SGPR: 2
; COMPUTE_PGM_RSRC2:TRAP_HANDLER: 0
; COMPUTE_PGM_RSRC2:TGID_X_EN: 1
; COMPUTE_PGM_RSRC2:TGID_Y_EN: 0
; COMPUTE_PGM_RSRC2:TGID_Z_EN: 0
; COMPUTE_PGM_RSRC2:TIDIG_COMP_CNT: 0
	.section	.text._ZL13processCyclesiPKiS0_S0_PK8EdgeInfoPb,"axG",@progbits,_ZL13processCyclesiPKiS0_S0_PK8EdgeInfoPb,comdat
	.globl	_ZL13processCyclesiPKiS0_S0_PK8EdgeInfoPb ; -- Begin function _ZL13processCyclesiPKiS0_S0_PK8EdgeInfoPb
	.p2align	8
	.type	_ZL13processCyclesiPKiS0_S0_PK8EdgeInfoPb,@function
_ZL13processCyclesiPKiS0_S0_PK8EdgeInfoPb: ; @_ZL13processCyclesiPKiS0_S0_PK8EdgeInfoPb
; %bb.0:
	s_bfe_u32 s3, ttmp6, 0x4000c
	s_load_b32 s2, s[0:1], 0x0
	s_add_co_i32 s3, s3, 1
	s_and_b32 s4, ttmp6, 15
	s_mul_i32 s3, ttmp9, s3
	s_getreg_b32 s5, hwreg(HW_REG_IB_STS2, 6, 4)
	s_add_co_i32 s4, s4, s3
	s_cmp_eq_u32 s5, 0
	s_cselect_b32 s3, ttmp9, s4
	s_mov_b32 s4, exec_lo
	v_lshl_add_u32 v1, s3, 8, v0
	s_mov_b32 s3, 0
	s_delay_alu instid0(VALU_DEP_1) | instskip(SKIP_1) | instid1(VALU_DEP_1)
	v_lshrrev_b32_e32 v2, 5, v1
	s_wait_kmcnt 0x0
	v_cmpx_gt_i32_e64 s2, v2
	s_cbranch_execz .LBB6_18
; %bb.1:
	s_clause 0x1
	s_load_b96 s[12:14], s[0:1], 0x28
	s_load_b256 s[4:11], s[0:1], 0x8
	v_bitop3_b32 v10, v0, 0xffffffe0, v0 bitop3:0xcf
	v_mov_b32_e32 v3, 0
	s_wait_kmcnt 0x0
	s_lshl_b32 s0, s14, 3
	s_delay_alu instid0(SALU_CYCLE_1)
	s_and_b32 s14, s0, 0x7fffff8
	s_add_nc_u64 s[0:1], s[10:11], 4
	s_branch .LBB6_3
.LBB6_2:                                ;   in Loop: Header=BB6_3 Depth=1
	s_or_b32 exec_lo, exec_lo, s10
	v_add_nc_u32_e32 v2, s14, v2
	s_delay_alu instid0(VALU_DEP_1) | instskip(SKIP_1) | instid1(SALU_CYCLE_1)
	v_cmp_le_i32_e32 vcc_lo, s2, v2
	s_or_b32 s3, vcc_lo, s3
	s_and_not1_b32 exec_lo, exec_lo, s3
	s_cbranch_execz .LBB6_18
.LBB6_3:                                ; =>This Loop Header: Depth=1
                                        ;     Child Loop BB6_9 Depth 2
                                        ;       Child Loop BB6_14 Depth 3
                                        ;         Child Loop BB6_16 Depth 4
	v_lshl_add_u64 v[0:1], v[2:3], 2, s[4:5]
	s_mov_b32 s10, exec_lo
	global_load_b64 v[0:1], v[0:1], off
	s_wait_loadcnt 0x0
	v_add_nc_u32_e32 v4, v1, v10
	s_wait_xcnt 0x0
	s_delay_alu instid0(VALU_DEP_1)
	v_cmpx_ge_i32_e64 v4, v0
	s_cbranch_execz .LBB6_2
; %bb.4:                                ;   in Loop: Header=BB6_3 Depth=1
	v_lshl_add_u64 v[6:7], v[2:3], 2, s[8:9]
	s_mov_b32 s11, 0
                                        ; implicit-def: $sgpr15
	global_load_b32 v1, v[6:7], off
	s_wait_loadcnt 0x0
	v_or_b32_e32 v11, 1, v1
	s_branch .LBB6_9
.LBB6_5:                                ;   in Loop: Header=BB6_9 Depth=2
	s_or_b32 exec_lo, exec_lo, s19
	v_and_b32_e32 v7, 1, v12
.LBB6_6:                                ;   in Loop: Header=BB6_9 Depth=2
	s_or_b32 exec_lo, exec_lo, s18
	v_add_nc_u64_e32 v[8:9], s[12:13], v[4:5]
	global_store_b8 v[8:9], v7, off
.LBB6_7:                                ;   in Loop: Header=BB6_9 Depth=2
	s_wait_xcnt 0x0
	s_or_b32 exec_lo, exec_lo, s17
	v_subrev_nc_u32_e32 v4, 32, v4
	s_and_not1_b32 s15, s15, exec_lo
	s_delay_alu instid0(VALU_DEP_1) | instskip(SKIP_1) | instid1(SALU_CYCLE_1)
	v_cmp_lt_i32_e32 vcc_lo, v4, v0
	s_and_b32 s17, vcc_lo, exec_lo
	s_or_b32 s15, s15, s17
.LBB6_8:                                ;   in Loop: Header=BB6_9 Depth=2
	s_or_b32 exec_lo, exec_lo, s16
	s_delay_alu instid0(SALU_CYCLE_1) | instskip(NEXT) | instid1(SALU_CYCLE_1)
	s_and_b32 s16, exec_lo, s15
	s_or_b32 s11, s16, s11
	s_delay_alu instid0(SALU_CYCLE_1)
	s_and_not1_b32 exec_lo, exec_lo, s11
	s_cbranch_execz .LBB6_2
.LBB6_9:                                ;   Parent Loop BB6_3 Depth=1
                                        ; =>  This Loop Header: Depth=2
                                        ;       Child Loop BB6_14 Depth 3
                                        ;         Child Loop BB6_16 Depth 4
	global_load_b32 v5, v4, s[6:7] scale_offset
	s_or_b32 s15, s15, exec_lo
	s_mov_b32 s16, exec_lo
	s_wait_loadcnt 0x0
	s_wait_xcnt 0x1
	v_and_b32_e32 v6, 1, v5
	s_wait_xcnt 0x0
	s_delay_alu instid0(VALU_DEP_1)
	v_cmpx_eq_u32_e32 0, v6
	s_cbranch_execz .LBB6_8
; %bb.10:                               ;   in Loop: Header=BB6_9 Depth=2
	v_dual_ashrrev_i32 v6, 1, v5 :: v_dual_ashrrev_i32 v5, 31, v4
	s_mov_b32 s17, exec_lo
	s_delay_alu instid0(VALU_DEP_1)
	v_cmpx_gt_i32_e64 v6, v2
	s_cbranch_execz .LBB6_7
; %bb.11:                               ;   in Loop: Header=BB6_9 Depth=2
	global_load_b32 v7, v6, s[8:9] scale_offset
	s_wait_loadcnt 0x0
	v_cmp_ne_u32_e32 vcc_lo, v7, v1
	v_mov_b32_e32 v7, 0
	s_wait_xcnt 0x0
	s_and_saveexec_b32 s18, vcc_lo
	s_cbranch_execz .LBB6_6
; %bb.12:                               ;   in Loop: Header=BB6_9 Depth=2
	v_dual_mov_b32 v12, 0 :: v_dual_ashrrev_i32 v7, 31, v6
	s_mov_b32 s19, 0
	s_branch .LBB6_14
.LBB6_13:                               ;   in Loop: Header=BB6_14 Depth=3
	s_or_b32 exec_lo, exec_lo, s20
	v_lshl_add_u64 v[6:7], v[6:7], 2, s[6:7]
	global_load_b32 v6, v[6:7], off
	s_wait_loadcnt 0x0
	s_wait_xcnt 0x0
	v_ashrrev_i32_e32 v6, 1, v6
	global_load_b32 v7, v6, s[8:9] scale_offset
	global_load_b32 v13, v[8:9], off offset:-8
	s_wait_loadcnt 0x1
	v_cmp_eq_u32_e32 vcc_lo, v7, v1
	s_wait_loadcnt 0x0
	v_dual_add_nc_u32 v12, v13, v12 :: v_dual_ashrrev_i32 v7, 31, v6
	s_or_b32 s19, vcc_lo, s19
	s_wait_xcnt 0x0
	s_and_not1_b32 exec_lo, exec_lo, s19
	s_cbranch_execz .LBB6_5
.LBB6_14:                               ;   Parent Loop BB6_3 Depth=1
                                        ;     Parent Loop BB6_9 Depth=2
                                        ; =>    This Loop Header: Depth=3
                                        ;         Child Loop BB6_16 Depth 4
	s_delay_alu instid0(VALU_DEP_1)
	v_lshl_add_u64 v[6:7], v[6:7], 2, s[4:5]
	s_mov_b32 s20, 0
	global_load_b32 v8, v[6:7], off
	s_wait_loadcnt 0x0
	v_ashrrev_i32_e32 v9, 31, v8
	s_wait_xcnt 0x0
	s_delay_alu instid0(VALU_DEP_1)
	v_add_nc_u64_e32 v[6:7], -1, v[8:9]
	v_lshl_add_u64 v[8:9], v[8:9], 3, s[0:1]
	s_branch .LBB6_16
.LBB6_15:                               ;   in Loop: Header=BB6_16 Depth=4
	s_wait_xcnt 0x0
	s_or_b32 exec_lo, exec_lo, s21
	v_and_b32_e32 v13, 1, v13
	v_add_nc_u64_e32 v[6:7], 1, v[6:7]
	v_add_nc_u64_e32 v[8:9], 8, v[8:9]
	s_delay_alu instid0(VALU_DEP_3) | instskip(SKIP_1) | instid1(SALU_CYCLE_1)
	v_cmp_ne_u32_e32 vcc_lo, v13, v14
	s_or_b32 s20, vcc_lo, s20
	s_and_not1_b32 exec_lo, exec_lo, s20
	s_cbranch_execz .LBB6_13
.LBB6_16:                               ;   Parent Loop BB6_3 Depth=1
                                        ;     Parent Loop BB6_9 Depth=2
                                        ;       Parent Loop BB6_14 Depth=3
                                        ; =>      This Inner Loop Header: Depth=4
	global_load_b32 v13, v[8:9], off offset:-4
	v_mov_b32_e32 v14, 0
	s_mov_b32 s21, exec_lo
	s_wait_loadcnt 0x0
	s_wait_xcnt 0x0
	v_cmpx_le_i32_e64 v13, v11
	s_cbranch_execz .LBB6_15
; %bb.17:                               ;   in Loop: Header=BB6_16 Depth=4
	global_load_b32 v14, v[8:9], off
	s_wait_loadcnt 0x0
	v_cmp_le_i32_e32 vcc_lo, v1, v14
	v_cndmask_b32_e64 v14, 0, 1, vcc_lo
	s_branch .LBB6_15
.LBB6_18:
	s_endpgm
	.section	.rodata,"a",@progbits
	.p2align	6, 0x0
	.amdhsa_kernel _ZL13processCyclesiPKiS0_S0_PK8EdgeInfoPb
		.amdhsa_group_segment_fixed_size 0
		.amdhsa_private_segment_fixed_size 0
		.amdhsa_kernarg_size 304
		.amdhsa_user_sgpr_count 2
		.amdhsa_user_sgpr_dispatch_ptr 0
		.amdhsa_user_sgpr_queue_ptr 0
		.amdhsa_user_sgpr_kernarg_segment_ptr 1
		.amdhsa_user_sgpr_dispatch_id 0
		.amdhsa_user_sgpr_kernarg_preload_length 0
		.amdhsa_user_sgpr_kernarg_preload_offset 0
		.amdhsa_user_sgpr_private_segment_size 0
		.amdhsa_wavefront_size32 1
		.amdhsa_uses_dynamic_stack 0
		.amdhsa_enable_private_segment 0
		.amdhsa_system_sgpr_workgroup_id_x 1
		.amdhsa_system_sgpr_workgroup_id_y 0
		.amdhsa_system_sgpr_workgroup_id_z 0
		.amdhsa_system_sgpr_workgroup_info 0
		.amdhsa_system_vgpr_workitem_id 0
		.amdhsa_next_free_vgpr 15
		.amdhsa_next_free_sgpr 22
		.amdhsa_named_barrier_count 0
		.amdhsa_reserve_vcc 1
		.amdhsa_float_round_mode_32 0
		.amdhsa_float_round_mode_16_64 0
		.amdhsa_float_denorm_mode_32 3
		.amdhsa_float_denorm_mode_16_64 3
		.amdhsa_fp16_overflow 0
		.amdhsa_memory_ordered 1
		.amdhsa_forward_progress 1
		.amdhsa_inst_pref_size 6
		.amdhsa_round_robin_scheduling 0
		.amdhsa_exception_fp_ieee_invalid_op 0
		.amdhsa_exception_fp_denorm_src 0
		.amdhsa_exception_fp_ieee_div_zero 0
		.amdhsa_exception_fp_ieee_overflow 0
		.amdhsa_exception_fp_ieee_underflow 0
		.amdhsa_exception_fp_ieee_inexact 0
		.amdhsa_exception_int_div_zero 0
	.end_amdhsa_kernel
	.section	.text._ZL13processCyclesiPKiS0_S0_PK8EdgeInfoPb,"axG",@progbits,_ZL13processCyclesiPKiS0_S0_PK8EdgeInfoPb,comdat
.Lfunc_end6:
	.size	_ZL13processCyclesiPKiS0_S0_PK8EdgeInfoPb, .Lfunc_end6-_ZL13processCyclesiPKiS0_S0_PK8EdgeInfoPb
                                        ; -- End function
	.set _ZL13processCyclesiPKiS0_S0_PK8EdgeInfoPb.num_vgpr, 15
	.set _ZL13processCyclesiPKiS0_S0_PK8EdgeInfoPb.num_agpr, 0
	.set _ZL13processCyclesiPKiS0_S0_PK8EdgeInfoPb.numbered_sgpr, 22
	.set _ZL13processCyclesiPKiS0_S0_PK8EdgeInfoPb.num_named_barrier, 0
	.set _ZL13processCyclesiPKiS0_S0_PK8EdgeInfoPb.private_seg_size, 0
	.set _ZL13processCyclesiPKiS0_S0_PK8EdgeInfoPb.uses_vcc, 1
	.set _ZL13processCyclesiPKiS0_S0_PK8EdgeInfoPb.uses_flat_scratch, 0
	.set _ZL13processCyclesiPKiS0_S0_PK8EdgeInfoPb.has_dyn_sized_stack, 0
	.set _ZL13processCyclesiPKiS0_S0_PK8EdgeInfoPb.has_recursion, 0
	.set _ZL13processCyclesiPKiS0_S0_PK8EdgeInfoPb.has_indirect_call, 0
	.section	.AMDGPU.csdata,"",@progbits
; Kernel info:
; codeLenInByte = 760
; TotalNumSgprs: 24
; NumVgprs: 15
; ScratchSize: 0
; MemoryBound: 0
; FloatMode: 240
; IeeeMode: 1
; LDSByteSize: 0 bytes/workgroup (compile time only)
; SGPRBlocks: 0
; VGPRBlocks: 0
; NumSGPRsForWavesPerEU: 24
; NumVGPRsForWavesPerEU: 15
; NamedBarCnt: 0
; Occupancy: 16
; WaveLimiterHint : 1
; COMPUTE_PGM_RSRC2:SCRATCH_EN: 0
; COMPUTE_PGM_RSRC2:USER_SGPR: 2
; COMPUTE_PGM_RSRC2:TRAP_HANDLER: 0
; COMPUTE_PGM_RSRC2:TGID_X_EN: 1
; COMPUTE_PGM_RSRC2:TGID_Y_EN: 0
; COMPUTE_PGM_RSRC2:TGID_Z_EN: 0
; COMPUTE_PGM_RSRC2:TIDIG_COMP_CNT: 0
	.section	.text._ZL9initMinusiiPKiS0_PK8EdgeInfoPb,"axG",@progbits,_ZL9initMinusiiPKiS0_PK8EdgeInfoPb,comdat
	.globl	_ZL9initMinusiiPKiS0_PK8EdgeInfoPb ; -- Begin function _ZL9initMinusiiPKiS0_PK8EdgeInfoPb
	.p2align	8
	.type	_ZL9initMinusiiPKiS0_PK8EdgeInfoPb,@function
_ZL9initMinusiiPKiS0_PK8EdgeInfoPb:     ; @_ZL9initMinusiiPKiS0_PK8EdgeInfoPb
; %bb.0:
	s_clause 0x2
	s_load_b64 s[12:13], s[0:1], 0x0
	s_load_b32 s8, s[0:1], 0x28
	s_load_b128 s[4:7], s[0:1], 0x18
	s_bfe_u32 s2, ttmp6, 0x4000c
	s_and_b32 s3, ttmp6, 15
	s_add_co_i32 s2, s2, 1
	s_getreg_b32 s9, hwreg(HW_REG_IB_STS2, 6, 4)
	s_mul_i32 s2, ttmp9, s2
	s_delay_alu instid0(SALU_CYCLE_1)
	s_add_co_i32 s3, s3, s2
	s_cmp_eq_u32 s9, 0
	s_cselect_b32 s2, ttmp9, s3
	s_mov_b32 s3, exec_lo
	v_lshl_add_u32 v0, s2, 8, v0
	s_wait_kmcnt 0x0
	s_lshl_b32 s14, s8, 8
	s_delay_alu instid0(VALU_DEP_1)
	v_cmpx_gt_i32_e64 s12, v0
	s_cbranch_execz .LBB7_8
; %bb.1:
	s_cvt_f32_u32 s2, s14
	v_add_nc_u32_e32 v1, s14, v0
	s_sub_co_i32 s9, 0, s14
	s_delay_alu instid0(SALU_CYCLE_1) | instskip(NEXT) | instid1(VALU_DEP_1)
	v_rcp_iflag_f32_e32 v2, s2
	v_cmp_gt_i32_e32 vcc_lo, s12, v1
	v_add_co_ci_u32_e64 v3, null, s14, v0, vcc_lo
	s_delay_alu instid0(TRANS32_DEP_1) | instskip(SKIP_2) | instid1(VALU_DEP_1)
	v_readfirstlane_b32 s2, v2
	v_max_i32_e32 v2, s12, v1
	s_mul_f32 s2, s2, 0x4f7ffffe
	v_sub_nc_u32_e32 v2, v2, v3
	s_delay_alu instid0(SALU_CYCLE_2) | instskip(NEXT) | instid1(SALU_CYCLE_3)
	s_cvt_u32_f32 s2, s2
	s_mul_i32 s9, s9, s2
	s_delay_alu instid0(SALU_CYCLE_1) | instskip(NEXT) | instid1(SALU_CYCLE_1)
	s_mul_hi_u32 s9, s2, s9
	s_add_co_i32 s2, s2, s9
	s_mov_b32 s9, -1
	v_mul_hi_u32 v3, v2, s2
	s_delay_alu instid0(VALU_DEP_1) | instskip(NEXT) | instid1(VALU_DEP_1)
	v_mul_lo_u32 v4, v3, s14
	v_dual_sub_nc_u32 v2, v2, v4 :: v_dual_add_nc_u32 v4, 1, v3
	s_delay_alu instid0(VALU_DEP_1) | instskip(NEXT) | instid1(VALU_DEP_1)
	v_cmp_le_u32_e64 s2, s14, v2
	v_cndmask_b32_e64 v3, v3, v4, s2
	v_subrev_nc_u32_e32 v5, s14, v2
	s_delay_alu instid0(VALU_DEP_1) | instskip(NEXT) | instid1(VALU_DEP_1)
	v_dual_add_nc_u32 v4, 1, v3 :: v_dual_cndmask_b32 v2, v2, v5, s2
	v_cmp_le_u32_e64 s2, s14, v2
	s_delay_alu instid0(VALU_DEP_1) | instskip(SKIP_1) | instid1(VALU_DEP_1)
	v_cndmask_b32_e64 v2, v3, v4, s2
	s_mov_b32 s2, exec_lo
	v_add_co_ci_u32_e64 v10, null, 1, v2, vcc_lo
	v_mov_b32_e32 v2, v0
	s_delay_alu instid0(VALU_DEP_2)
	v_cmpx_lt_u32_e32 7, v10
	s_cbranch_execz .LBB7_5
; %bb.2:
	v_mad_u32 v7, s14, 7, v0
	v_mad_u32 v6, s14, 6, v0
	v_dual_mov_b32 v12, 1 :: v_dual_bitop2_b32 v11, -8, v10 bitop3:0x40
	v_mad_u32 v5, s14, 5, v0
	v_mad_u32 v3, s14, 3, v0
	v_lshl_add_u32 v4, s14, 2, v0
	v_lshl_add_u32 v2, s14, 1, v0
	v_mov_b32_e32 v13, v11
	s_lshl_b32 s8, s8, 11
	s_mov_b32 s18, 0
	s_mov_b32 s9, s8
	v_mov_b64_e32 v[8:9], v[6:7]
	v_mov_b64_e32 v[6:7], v[4:5]
	;; [unrolled: 1-line block ×4, first 2 shown]
	s_mov_b32 s10, s8
	s_mov_b32 s11, s8
	;; [unrolled: 1-line block ×6, first 2 shown]
.LBB7_3:                                ; =>This Inner Loop Header: Depth=1
	v_add_nc_u32_e32 v13, -8, v13
	s_clause 0x7
	global_store_b8 v2, v12, s[6:7]
	global_store_b8 v3, v12, s[6:7]
	;; [unrolled: 1-line block ×8, first 2 shown]
	s_wait_xcnt 0x0
	v_dual_add_nc_u32 v7, s16, v7 :: v_dual_add_nc_u32 v9, s19, v9
	v_add_nc_u32_e32 v8, s17, v8
	v_cmp_eq_u32_e32 vcc_lo, 0, v13
	v_dual_add_nc_u32 v6, s15, v6 :: v_dual_add_nc_u32 v5, s11, v5
	v_dual_add_nc_u32 v4, s10, v4 :: v_dual_add_nc_u32 v3, s9, v3
	v_add_nc_u32_e32 v2, s8, v2
	s_or_b32 s18, vcc_lo, s18
	s_delay_alu instid0(SALU_CYCLE_1)
	s_and_not1_b32 exec_lo, exec_lo, s18
	s_cbranch_execnz .LBB7_3
; %bb.4:
	s_or_b32 exec_lo, exec_lo, s18
	v_mad_u32 v2, v11, s14, v0
	v_cmp_ne_u32_e32 vcc_lo, v10, v11
	s_or_not1_b32 s9, vcc_lo, exec_lo
.LBB7_5:
	s_or_b32 exec_lo, exec_lo, s2
	s_delay_alu instid0(SALU_CYCLE_1)
	s_and_b32 exec_lo, exec_lo, s9
	s_cbranch_execz .LBB7_8
; %bb.6:
	s_delay_alu instid0(VALU_DEP_2)
	v_dual_ashrrev_i32 v3, 31, v2 :: v_dual_mov_b32 v1, 1
	s_ashr_i32 s15, s14, 31
	s_mov_b32 s2, 0
.LBB7_7:                                ; =>This Inner Loop Header: Depth=1
	s_delay_alu instid0(VALU_DEP_1)
	v_add_nc_u64_e32 v[4:5], s[6:7], v[2:3]
	v_add_nc_u64_e32 v[2:3], s[14:15], v[2:3]
	global_store_b8 v[4:5], v1, off
	v_cmp_le_i32_e32 vcc_lo, s12, v2
	s_or_b32 s2, vcc_lo, s2
	s_wait_xcnt 0x0
	s_and_not1_b32 exec_lo, exec_lo, s2
	s_cbranch_execnz .LBB7_7
.LBB7_8:
	s_or_b32 exec_lo, exec_lo, s3
	s_delay_alu instid0(SALU_CYCLE_1)
	s_mov_b32 s2, exec_lo
	v_cmpx_gt_i32_e64 s13, v0
	s_cbranch_execz .LBB7_16
; %bb.9:
	s_load_b128 s[8:11], s[0:1], 0x8
	s_wait_xcnt 0x0
	s_add_nc_u64 s[0:1], s[4:5], 4
	s_mov_b32 s2, 0
	s_branch .LBB7_11
.LBB7_10:                               ;   in Loop: Header=BB7_11 Depth=1
	s_or_b32 exec_lo, exec_lo, s3
	v_add_nc_u32_e32 v0, s14, v0
	s_delay_alu instid0(VALU_DEP_1) | instskip(SKIP_1) | instid1(SALU_CYCLE_1)
	v_cmp_le_i32_e32 vcc_lo, s13, v0
	s_or_b32 s2, vcc_lo, s2
	s_and_not1_b32 exec_lo, exec_lo, s2
	s_cbranch_execz .LBB7_16
.LBB7_11:                               ; =>This Loop Header: Depth=1
                                        ;     Child Loop BB7_14 Depth 2
	v_ashrrev_i32_e32 v1, 31, v0
	s_mov_b32 s3, exec_lo
	s_wait_kmcnt 0x0
	s_delay_alu instid0(VALU_DEP_1)
	v_lshl_add_u64 v[2:3], v[0:1], 2, s[8:9]
	global_load_b64 v[2:3], v[2:3], off
	s_wait_loadcnt 0x0
	v_cmpx_lt_i32_e64 v2, v3
	s_cbranch_execz .LBB7_10
; %bb.12:                               ;   in Loop: Header=BB7_11 Depth=1
	v_dual_mov_b32 v4, v2 :: v_dual_ashrrev_i32 v5, 31, v2
	s_mov_b32 s4, 0
                                        ; implicit-def: $sgpr5
	s_delay_alu instid0(VALU_DEP_1)
	v_lshl_add_u64 v[6:7], v[4:5], 2, s[10:11]
	v_lshl_add_u64 v[8:9], v[4:5], 3, s[0:1]
	s_branch .LBB7_14
.LBB7_13:                               ;   in Loop: Header=BB7_14 Depth=2
	s_wait_xcnt 0x0
	s_or_b32 exec_lo, exec_lo, s12
	s_delay_alu instid0(SALU_CYCLE_1) | instskip(NEXT) | instid1(SALU_CYCLE_1)
	s_and_b32 s12, exec_lo, s5
	s_or_b32 s4, s12, s4
	s_delay_alu instid0(SALU_CYCLE_1)
	s_and_not1_b32 exec_lo, exec_lo, s4
	s_cbranch_execz .LBB7_10
.LBB7_14:                               ;   Parent Loop BB7_11 Depth=1
                                        ; =>  This Inner Loop Header: Depth=2
	global_load_b32 v1, v[6:7], off
	s_or_b32 s5, s5, exec_lo
	s_mov_b32 s12, exec_lo
	s_wait_loadcnt 0x0
	v_and_b32_e32 v1, 1, v1
	s_wait_xcnt 0x0
	s_delay_alu instid0(VALU_DEP_1)
	v_cmpx_eq_u32_e32 1, v1
	s_cbranch_execz .LBB7_13
; %bb.15:                               ;   in Loop: Header=BB7_14 Depth=2
	global_load_b32 v1, v[8:9], off
	v_add_nc_u64_e32 v[10:11], s[6:7], v[4:5]
	v_add_nc_u64_e32 v[4:5], 1, v[4:5]
	;; [unrolled: 1-line block ×3, first 2 shown]
	s_wait_xcnt 0x0
	v_add_nc_u64_e32 v[8:9], 8, v[8:9]
	s_and_not1_b32 s5, s5, exec_lo
	s_delay_alu instid0(VALU_DEP_3) | instskip(SKIP_1) | instid1(SALU_CYCLE_1)
	v_cmp_ge_i32_e32 vcc_lo, v4, v3
	s_and_b32 s15, vcc_lo, exec_lo
	s_or_b32 s5, s5, s15
	s_wait_loadcnt 0x0
	v_and_b32_e32 v1, 1, v1
	global_store_b8 v[10:11], v1, off
	s_branch .LBB7_13
.LBB7_16:
	s_endpgm
	.section	.rodata,"a",@progbits
	.p2align	6, 0x0
	.amdhsa_kernel _ZL9initMinusiiPKiS0_PK8EdgeInfoPb
		.amdhsa_group_segment_fixed_size 0
		.amdhsa_private_segment_fixed_size 0
		.amdhsa_kernarg_size 296
		.amdhsa_user_sgpr_count 2
		.amdhsa_user_sgpr_dispatch_ptr 0
		.amdhsa_user_sgpr_queue_ptr 0
		.amdhsa_user_sgpr_kernarg_segment_ptr 1
		.amdhsa_user_sgpr_dispatch_id 0
		.amdhsa_user_sgpr_kernarg_preload_length 0
		.amdhsa_user_sgpr_kernarg_preload_offset 0
		.amdhsa_user_sgpr_private_segment_size 0
		.amdhsa_wavefront_size32 1
		.amdhsa_uses_dynamic_stack 0
		.amdhsa_enable_private_segment 0
		.amdhsa_system_sgpr_workgroup_id_x 1
		.amdhsa_system_sgpr_workgroup_id_y 0
		.amdhsa_system_sgpr_workgroup_id_z 0
		.amdhsa_system_sgpr_workgroup_info 0
		.amdhsa_system_vgpr_workitem_id 0
		.amdhsa_next_free_vgpr 14
		.amdhsa_next_free_sgpr 20
		.amdhsa_named_barrier_count 0
		.amdhsa_reserve_vcc 1
		.amdhsa_float_round_mode_32 0
		.amdhsa_float_round_mode_16_64 0
		.amdhsa_float_denorm_mode_32 3
		.amdhsa_float_denorm_mode_16_64 3
		.amdhsa_fp16_overflow 0
		.amdhsa_memory_ordered 1
		.amdhsa_forward_progress 1
		.amdhsa_inst_pref_size 8
		.amdhsa_round_robin_scheduling 0
		.amdhsa_exception_fp_ieee_invalid_op 0
		.amdhsa_exception_fp_denorm_src 0
		.amdhsa_exception_fp_ieee_div_zero 0
		.amdhsa_exception_fp_ieee_overflow 0
		.amdhsa_exception_fp_ieee_underflow 0
		.amdhsa_exception_fp_ieee_inexact 0
		.amdhsa_exception_int_div_zero 0
	.end_amdhsa_kernel
	.section	.text._ZL9initMinusiiPKiS0_PK8EdgeInfoPb,"axG",@progbits,_ZL9initMinusiiPKiS0_PK8EdgeInfoPb,comdat
.Lfunc_end7:
	.size	_ZL9initMinusiiPKiS0_PK8EdgeInfoPb, .Lfunc_end7-_ZL9initMinusiiPKiS0_PK8EdgeInfoPb
                                        ; -- End function
	.set _ZL9initMinusiiPKiS0_PK8EdgeInfoPb.num_vgpr, 14
	.set _ZL9initMinusiiPKiS0_PK8EdgeInfoPb.num_agpr, 0
	.set _ZL9initMinusiiPKiS0_PK8EdgeInfoPb.numbered_sgpr, 20
	.set _ZL9initMinusiiPKiS0_PK8EdgeInfoPb.num_named_barrier, 0
	.set _ZL9initMinusiiPKiS0_PK8EdgeInfoPb.private_seg_size, 0
	.set _ZL9initMinusiiPKiS0_PK8EdgeInfoPb.uses_vcc, 1
	.set _ZL9initMinusiiPKiS0_PK8EdgeInfoPb.uses_flat_scratch, 0
	.set _ZL9initMinusiiPKiS0_PK8EdgeInfoPb.has_dyn_sized_stack, 0
	.set _ZL9initMinusiiPKiS0_PK8EdgeInfoPb.has_recursion, 0
	.set _ZL9initMinusiiPKiS0_PK8EdgeInfoPb.has_indirect_call, 0
	.section	.AMDGPU.csdata,"",@progbits
; Kernel info:
; codeLenInByte = 1020
; TotalNumSgprs: 22
; NumVgprs: 14
; ScratchSize: 0
; MemoryBound: 0
; FloatMode: 240
; IeeeMode: 1
; LDSByteSize: 0 bytes/workgroup (compile time only)
; SGPRBlocks: 0
; VGPRBlocks: 0
; NumSGPRsForWavesPerEU: 22
; NumVGPRsForWavesPerEU: 14
; NamedBarCnt: 0
; Occupancy: 16
; WaveLimiterHint : 0
; COMPUTE_PGM_RSRC2:SCRATCH_EN: 0
; COMPUTE_PGM_RSRC2:USER_SGPR: 2
; COMPUTE_PGM_RSRC2:TRAP_HANDLER: 0
; COMPUTE_PGM_RSRC2:TGID_X_EN: 1
; COMPUTE_PGM_RSRC2:TGID_Y_EN: 0
; COMPUTE_PGM_RSRC2:TGID_Z_EN: 0
; COMPUTE_PGM_RSRC2:TIDIG_COMP_CNT: 0
	.section	.text._ZL5init3iPKiS0_PiS1_,"axG",@progbits,_ZL5init3iPKiS0_PiS1_,comdat
	.globl	_ZL5init3iPKiS0_PiS1_           ; -- Begin function _ZL5init3iPKiS0_PiS1_
	.p2align	8
	.type	_ZL5init3iPKiS0_PiS1_,@function
_ZL5init3iPKiS0_PiS1_:                  ; @_ZL5init3iPKiS0_PiS1_
; %bb.0:
	s_load_b32 s8, s[0:1], 0x0
	s_bfe_u32 s2, ttmp6, 0x4000c
	s_and_b32 s3, ttmp6, 15
	s_add_co_i32 s2, s2, 1
	s_getreg_b32 s4, hwreg(HW_REG_IB_STS2, 6, 4)
	s_mul_i32 s2, ttmp9, s2
	s_delay_alu instid0(SALU_CYCLE_1) | instskip(SKIP_2) | instid1(SALU_CYCLE_1)
	s_add_co_i32 s3, s3, s2
	s_cmp_eq_u32 s4, 0
	s_cselect_b32 s2, ttmp9, s3
	v_lshl_add_u32 v0, s2, 8, v0
	s_mov_b32 s2, exec_lo
	s_wait_kmcnt 0x0
	s_delay_alu instid0(VALU_DEP_1)
	v_cmpx_gt_i32_e64 s8, v0
	s_cbranch_execz .LBB8_15
; %bb.1:
	s_clause 0x1
	s_load_b32 s9, s[0:1], 0x28
	s_load_b64 s[6:7], s[0:1], 0x18
	s_mov_b32 s5, -1
	s_wait_kmcnt 0x0
	s_lshl_b32 s4, s9, 8
	s_delay_alu instid0(SALU_CYCLE_1) | instskip(SKIP_2) | instid1(SALU_CYCLE_1)
	s_cvt_f32_u32 s2, s4
	v_add_nc_u32_e32 v1, s4, v0
	s_sub_co_i32 s3, 0, s4
	v_rcp_iflag_f32_e32 v2, s2
	s_delay_alu instid0(VALU_DEP_1) | instskip(SKIP_1) | instid1(TRANS32_DEP_1)
	v_cmp_gt_i32_e32 vcc_lo, s8, v1
	v_add_co_ci_u32_e64 v3, null, s4, v0, vcc_lo
	v_readfirstlane_b32 s2, v2
	v_max_i32_e32 v2, s8, v1
	s_mul_f32 s2, s2, 0x4f7ffffe
	s_delay_alu instid0(VALU_DEP_1) | instskip(NEXT) | instid1(SALU_CYCLE_2)
	v_sub_nc_u32_e32 v2, v2, v3
	s_cvt_u32_f32 s2, s2
	s_delay_alu instid0(SALU_CYCLE_3) | instskip(NEXT) | instid1(SALU_CYCLE_1)
	s_mul_i32 s3, s3, s2
	s_mul_hi_u32 s3, s2, s3
	s_delay_alu instid0(SALU_CYCLE_1) | instskip(NEXT) | instid1(SALU_CYCLE_1)
	s_add_co_i32 s2, s2, s3
	v_mul_hi_u32 v3, v2, s2
	s_delay_alu instid0(VALU_DEP_1) | instskip(NEXT) | instid1(VALU_DEP_1)
	v_mul_lo_u32 v4, v3, s4
	v_dual_sub_nc_u32 v2, v2, v4 :: v_dual_add_nc_u32 v4, 1, v3
	s_delay_alu instid0(VALU_DEP_1) | instskip(NEXT) | instid1(VALU_DEP_1)
	v_cmp_le_u32_e64 s2, s4, v2
	v_cndmask_b32_e64 v3, v3, v4, s2
	v_subrev_nc_u32_e32 v5, s4, v2
	s_delay_alu instid0(VALU_DEP_1) | instskip(NEXT) | instid1(VALU_DEP_1)
	v_dual_add_nc_u32 v4, 1, v3 :: v_dual_cndmask_b32 v2, v2, v5, s2
	v_cmp_le_u32_e64 s2, s4, v2
	s_delay_alu instid0(VALU_DEP_1) | instskip(NEXT) | instid1(VALU_DEP_1)
	v_cndmask_b32_e64 v2, v3, v4, s2
	v_add_co_ci_u32_e64 v6, null, 1, v2, vcc_lo
	v_mov_b32_e32 v2, v0
	s_delay_alu instid0(VALU_DEP_2)
	v_cmp_lt_u32_e32 vcc_lo, 1, v6
	v_and_b32_e32 v7, -2, v6
	s_and_saveexec_b32 s3, vcc_lo
	s_cbranch_execz .LBB8_5
; %bb.2:
	v_dual_mov_b32 v5, v0 :: v_dual_bitop2_b32 v4, -2, v6 bitop3:0x40
	v_mov_b64_e32 v[2:3], v[0:1]
	s_lshl_b32 s5, s9, 9
	s_mov_b32 s10, 0
	s_delay_alu instid0(VALU_DEP_2)
	v_mov_b32_e32 v8, v4
	s_mov_b32 s11, s5
.LBB8_3:                                ; =>This Inner Loop Header: Depth=1
	s_delay_alu instid0(VALU_DEP_1)
	v_dual_add_nc_u32 v8, -2, v8 :: v_dual_add_nc_u32 v9, s4, v5
	global_store_b32 v2, v5, s[6:7] scale_offset
	s_wait_xcnt 0x0
	v_dual_add_nc_u32 v2, s5, v2 :: v_dual_add_nc_u32 v5, s5, v5
	v_cmp_eq_u32_e64 s2, 0, v8
	global_store_b32 v3, v9, s[6:7] scale_offset
	s_wait_xcnt 0x0
	v_add_nc_u32_e32 v3, s11, v3
	s_or_b32 s10, s2, s10
	s_delay_alu instid0(SALU_CYCLE_1)
	s_and_not1_b32 exec_lo, exec_lo, s10
	s_cbranch_execnz .LBB8_3
; %bb.4:
	s_or_b32 exec_lo, exec_lo, s10
	v_mad_u32 v2, v4, s4, v0
	v_cmp_ne_u32_e64 s2, v6, v4
	s_or_not1_b32 s5, s2, exec_lo
.LBB8_5:
	s_or_b32 exec_lo, exec_lo, s3
	s_load_b64 s[2:3], s[0:1], 0x20
	s_wait_xcnt 0x0
	s_and_saveexec_b32 s1, s5
	s_cbranch_execz .LBB8_8
; %bb.6:
	v_ashrrev_i32_e32 v3, 31, v2
	s_ashr_i32 s5, s4, 31
	s_delay_alu instid0(VALU_DEP_1)
	v_lshl_add_u64 v[4:5], v[2:3], 2, s[6:7]
	s_lshl_b64 s[6:7], s[4:5], 2
	s_mov_b32 s5, 0
.LBB8_7:                                ; =>This Inner Loop Header: Depth=1
	global_store_b32 v[4:5], v2, off
	s_wait_xcnt 0x0
	v_add_nc_u32_e32 v2, s4, v2
	v_add_nc_u64_e32 v[4:5], s[6:7], v[4:5]
	s_delay_alu instid0(VALU_DEP_2) | instskip(SKIP_1) | instid1(SALU_CYCLE_1)
	v_cmp_le_i32_e64 s0, s8, v2
	s_or_b32 s5, s0, s5
	s_and_not1_b32 exec_lo, exec_lo, s5
	s_cbranch_execnz .LBB8_7
.LBB8_8:
	s_or_b32 exec_lo, exec_lo, s1
	s_mov_b32 s1, -1
	s_and_saveexec_b32 s0, vcc_lo
	s_cbranch_execz .LBB8_12
; %bb.9:
	v_mov_b64_e32 v[2:3], v[0:1]
	v_dual_mov_b32 v4, 0 :: v_dual_mov_b32 v5, v7
	s_lshl_b32 s1, s9, 9
	s_mov_b32 s5, 0
	s_mov_b32 s6, s1
.LBB8_10:                               ; =>This Inner Loop Header: Depth=1
	s_delay_alu instid0(VALU_DEP_1)
	v_add_nc_u32_e32 v5, -2, v5
	s_wait_kmcnt 0x0
	s_clause 0x1
	global_store_b32 v2, v4, s[2:3] scale_offset
	global_store_b32 v3, v4, s[2:3] scale_offset
	s_wait_xcnt 0x0
	v_dual_add_nc_u32 v3, s6, v3 :: v_dual_add_nc_u32 v2, s1, v2
	v_cmp_eq_u32_e32 vcc_lo, 0, v5
	s_or_b32 s5, vcc_lo, s5
	s_delay_alu instid0(SALU_CYCLE_1)
	s_and_not1_b32 exec_lo, exec_lo, s5
	s_cbranch_execnz .LBB8_10
; %bb.11:
	s_or_b32 exec_lo, exec_lo, s5
	v_mad_u32 v0, v7, s4, v0
	v_cmp_ne_u32_e32 vcc_lo, v6, v7
	s_or_not1_b32 s1, vcc_lo, exec_lo
.LBB8_12:
	s_or_b32 exec_lo, exec_lo, s0
	s_delay_alu instid0(SALU_CYCLE_1)
	s_and_b32 exec_lo, exec_lo, s1
	s_cbranch_execz .LBB8_15
; %bb.13:
	s_delay_alu instid0(VALU_DEP_2) | instskip(SKIP_1) | instid1(SALU_CYCLE_1)
	v_ashrrev_i32_e32 v1, 31, v0
	s_ashr_i32 s5, s4, 31
	s_lshl_b64 s[0:1], s[4:5], 2
	s_wait_kmcnt 0x0
	s_delay_alu instid0(VALU_DEP_1)
	v_lshl_add_u64 v[2:3], v[0:1], 2, s[2:3]
	v_mov_b32_e32 v1, 0
	s_mov_b32 s2, 0
.LBB8_14:                               ; =>This Inner Loop Header: Depth=1
	v_add_nc_u32_e32 v0, s4, v0
	global_store_b32 v[2:3], v1, off
	s_wait_xcnt 0x0
	v_add_nc_u64_e32 v[2:3], s[0:1], v[2:3]
	v_cmp_le_i32_e32 vcc_lo, s8, v0
	s_or_b32 s2, vcc_lo, s2
	s_delay_alu instid0(SALU_CYCLE_1)
	s_and_not1_b32 exec_lo, exec_lo, s2
	s_cbranch_execnz .LBB8_14
.LBB8_15:
	s_endpgm
	.section	.rodata,"a",@progbits
	.p2align	6, 0x0
	.amdhsa_kernel _ZL5init3iPKiS0_PiS1_
		.amdhsa_group_segment_fixed_size 0
		.amdhsa_private_segment_fixed_size 0
		.amdhsa_kernarg_size 296
		.amdhsa_user_sgpr_count 2
		.amdhsa_user_sgpr_dispatch_ptr 0
		.amdhsa_user_sgpr_queue_ptr 0
		.amdhsa_user_sgpr_kernarg_segment_ptr 1
		.amdhsa_user_sgpr_dispatch_id 0
		.amdhsa_user_sgpr_kernarg_preload_length 0
		.amdhsa_user_sgpr_kernarg_preload_offset 0
		.amdhsa_user_sgpr_private_segment_size 0
		.amdhsa_wavefront_size32 1
		.amdhsa_uses_dynamic_stack 0
		.amdhsa_enable_private_segment 0
		.amdhsa_system_sgpr_workgroup_id_x 1
		.amdhsa_system_sgpr_workgroup_id_y 0
		.amdhsa_system_sgpr_workgroup_id_z 0
		.amdhsa_system_sgpr_workgroup_info 0
		.amdhsa_system_vgpr_workitem_id 0
		.amdhsa_next_free_vgpr 10
		.amdhsa_next_free_sgpr 12
		.amdhsa_named_barrier_count 0
		.amdhsa_reserve_vcc 1
		.amdhsa_float_round_mode_32 0
		.amdhsa_float_round_mode_16_64 0
		.amdhsa_float_denorm_mode_32 3
		.amdhsa_float_denorm_mode_16_64 3
		.amdhsa_fp16_overflow 0
		.amdhsa_memory_ordered 1
		.amdhsa_forward_progress 1
		.amdhsa_inst_pref_size 7
		.amdhsa_round_robin_scheduling 0
		.amdhsa_exception_fp_ieee_invalid_op 0
		.amdhsa_exception_fp_denorm_src 0
		.amdhsa_exception_fp_ieee_div_zero 0
		.amdhsa_exception_fp_ieee_overflow 0
		.amdhsa_exception_fp_ieee_underflow 0
		.amdhsa_exception_fp_ieee_inexact 0
		.amdhsa_exception_int_div_zero 0
	.end_amdhsa_kernel
	.section	.text._ZL5init3iPKiS0_PiS1_,"axG",@progbits,_ZL5init3iPKiS0_PiS1_,comdat
.Lfunc_end8:
	.size	_ZL5init3iPKiS0_PiS1_, .Lfunc_end8-_ZL5init3iPKiS0_PiS1_
                                        ; -- End function
	.set _ZL5init3iPKiS0_PiS1_.num_vgpr, 10
	.set _ZL5init3iPKiS0_PiS1_.num_agpr, 0
	.set _ZL5init3iPKiS0_PiS1_.numbered_sgpr, 12
	.set _ZL5init3iPKiS0_PiS1_.num_named_barrier, 0
	.set _ZL5init3iPKiS0_PiS1_.private_seg_size, 0
	.set _ZL5init3iPKiS0_PiS1_.uses_vcc, 1
	.set _ZL5init3iPKiS0_PiS1_.uses_flat_scratch, 0
	.set _ZL5init3iPKiS0_PiS1_.has_dyn_sized_stack, 0
	.set _ZL5init3iPKiS0_PiS1_.has_recursion, 0
	.set _ZL5init3iPKiS0_PiS1_.has_indirect_call, 0
	.section	.AMDGPU.csdata,"",@progbits
; Kernel info:
; codeLenInByte = 808
; TotalNumSgprs: 14
; NumVgprs: 10
; ScratchSize: 0
; MemoryBound: 0
; FloatMode: 240
; IeeeMode: 1
; LDSByteSize: 0 bytes/workgroup (compile time only)
; SGPRBlocks: 0
; VGPRBlocks: 0
; NumSGPRsForWavesPerEU: 14
; NumVGPRsForWavesPerEU: 10
; NamedBarCnt: 0
; Occupancy: 16
; WaveLimiterHint : 0
; COMPUTE_PGM_RSRC2:SCRATCH_EN: 0
; COMPUTE_PGM_RSRC2:USER_SGPR: 2
; COMPUTE_PGM_RSRC2:TRAP_HANDLER: 0
; COMPUTE_PGM_RSRC2:TGID_X_EN: 1
; COMPUTE_PGM_RSRC2:TGID_Y_EN: 0
; COMPUTE_PGM_RSRC2:TGID_Z_EN: 0
; COMPUTE_PGM_RSRC2:TIDIG_COMP_CNT: 0
	.section	.text._ZL8compute1iPKiS0_PiPKbS1_,"axG",@progbits,_ZL8compute1iPKiS0_PiPKbS1_,comdat
	.globl	_ZL8compute1iPKiS0_PiPKbS1_     ; -- Begin function _ZL8compute1iPKiS0_PiPKbS1_
	.p2align	8
	.type	_ZL8compute1iPKiS0_PiPKbS1_,@function
_ZL8compute1iPKiS0_PiPKbS1_:            ; @_ZL8compute1iPKiS0_PiPKbS1_
; %bb.0:
	s_bfe_u32 s3, ttmp6, 0x4000c
	s_load_b32 s2, s[0:1], 0x0
	s_add_co_i32 s3, s3, 1
	s_and_b32 s4, ttmp6, 15
	s_mul_i32 s3, ttmp9, s3
	s_getreg_b32 s5, hwreg(HW_REG_IB_STS2, 6, 4)
	s_add_co_i32 s4, s4, s3
	s_cmp_eq_u32 s5, 0
	s_cselect_b32 s3, ttmp9, s4
	s_mov_b32 s4, exec_lo
	v_lshl_add_u32 v1, s3, 8, v0
	s_mov_b32 s3, 0
	s_delay_alu instid0(VALU_DEP_1) | instskip(SKIP_1) | instid1(VALU_DEP_1)
	v_lshrrev_b32_e32 v2, 5, v1
	s_wait_kmcnt 0x0
	v_cmpx_gt_i32_e64 s2, v2
	s_cbranch_execz .LBB9_30
; %bb.1:
	s_clause 0x1
	s_load_b96 s[12:14], s[0:1], 0x28
	s_load_b256 s[4:11], s[0:1], 0x8
	v_dual_mov_b32 v3, 0 :: v_dual_bitop2_b32 v8, 31, v0 bitop3:0x40
	s_wait_kmcnt 0x0
	s_lshl_b32 s0, s14, 3
	s_delay_alu instid0(SALU_CYCLE_1)
	s_and_b32 s0, s0, 0x7fffff8
	s_branch .LBB9_3
.LBB9_2:                                ;   in Loop: Header=BB9_3 Depth=1
	s_or_b32 exec_lo, exec_lo, s1
	v_add_nc_u32_e32 v2, s0, v2
	s_delay_alu instid0(VALU_DEP_1) | instskip(SKIP_1) | instid1(SALU_CYCLE_1)
	v_cmp_le_i32_e32 vcc_lo, s2, v2
	s_or_b32 s3, vcc_lo, s3
	s_and_not1_b32 exec_lo, exec_lo, s3
	s_cbranch_execz .LBB9_30
.LBB9_3:                                ; =>This Loop Header: Depth=1
                                        ;     Child Loop BB9_6 Depth 2
                                        ;     Child Loop BB9_12 Depth 2
                                        ;       Child Loop BB9_16 Depth 3
                                        ;       Child Loop BB9_22 Depth 3
	v_lshl_add_u64 v[0:1], v[2:3], 2, s[4:5]
	global_load_b32 v5, v2, s[8:9] scale_offset
	v_mov_b32_e32 v4, v2
	s_mov_b32 s1, exec_lo
	global_load_b64 v[0:1], v[0:1], off
	s_wait_loadcnt 0x1
	s_wait_xcnt 0x0
	v_cmpx_ne_u32_e64 v5, v2
	s_cbranch_execz .LBB9_9
; %bb.4:                                ;   in Loop: Header=BB9_3 Depth=1
	global_load_b32 v4, v5, s[8:9] scale_offset
	s_mov_b32 s14, exec_lo
	s_wait_loadcnt 0x0
	s_wait_xcnt 0x0
	v_cmpx_gt_i32_e64 v5, v4
	s_cbranch_execz .LBB9_8
; %bb.5:                                ;   in Loop: Header=BB9_3 Depth=1
	v_mov_b32_e32 v7, v2
	s_mov_b32 s15, 0
.LBB9_6:                                ;   Parent Loop BB9_3 Depth=1
                                        ; =>  This Inner Loop Header: Depth=2
	global_store_b32 v7, v4, s[8:9] scale_offset
	s_wait_xcnt 0x0
	v_dual_mov_b32 v6, v4 :: v_dual_mov_b32 v7, v5
	global_load_b32 v4, v4, s[8:9] scale_offset
	v_mov_b32_e32 v5, v6
	s_wait_loadcnt 0x0
	v_cmp_le_i32_e32 vcc_lo, v6, v4
	s_or_b32 s15, vcc_lo, s15
	s_wait_xcnt 0x0
	s_and_not1_b32 exec_lo, exec_lo, s15
	s_cbranch_execnz .LBB9_6
; %bb.7:                                ;   in Loop: Header=BB9_3 Depth=1
	s_or_b32 exec_lo, exec_lo, s15
	v_mov_b32_e32 v5, v6
.LBB9_8:                                ;   in Loop: Header=BB9_3 Depth=1
	s_or_b32 exec_lo, exec_lo, s14
	s_delay_alu instid0(VALU_DEP_1)
	v_mov_b32_e32 v4, v5
.LBB9_9:                                ;   in Loop: Header=BB9_3 Depth=1
	s_or_b32 exec_lo, exec_lo, s1
	s_wait_loadcnt 0x0
	v_add_nc_u32_e32 v6, v0, v8
	s_mov_b32 s1, exec_lo
	s_delay_alu instid0(VALU_DEP_1)
	v_cmpx_lt_i32_e64 v6, v1
	s_cbranch_execz .LBB9_2
; %bb.10:                               ;   in Loop: Header=BB9_3 Depth=1
	s_mov_b32 s14, 0
	s_branch .LBB9_12
.LBB9_11:                               ;   in Loop: Header=BB9_12 Depth=2
	s_wait_xcnt 0x0
	s_or_b32 exec_lo, exec_lo, s15
	v_add_nc_u32_e32 v6, 32, v6
	s_delay_alu instid0(VALU_DEP_1) | instskip(SKIP_1) | instid1(SALU_CYCLE_1)
	v_cmp_ge_i32_e32 vcc_lo, v6, v1
	s_or_b32 s14, vcc_lo, s14
	s_and_not1_b32 exec_lo, exec_lo, s14
	s_cbranch_execz .LBB9_2
.LBB9_12:                               ;   Parent Loop BB9_3 Depth=1
                                        ; =>  This Loop Header: Depth=2
                                        ;       Child Loop BB9_16 Depth 3
                                        ;       Child Loop BB9_22 Depth 3
	global_load_u8 v0, v6, s[10:11]
	s_wait_loadcnt 0x0
	v_dual_ashrrev_i32 v7, 31, v6 :: v_dual_bitop2_b32 v0, 1, v0 bitop3:0x40
	s_delay_alu instid0(VALU_DEP_1) | instskip(SKIP_3) | instid1(SALU_CYCLE_1)
	v_cmp_eq_u32_e32 vcc_lo, 1, v0
	s_xor_b32 s15, vcc_lo, -1
	s_wait_xcnt 0x0
	s_and_saveexec_b32 s16, s15
	s_xor_b32 s15, exec_lo, s16
	s_cbranch_execz .LBB9_28
; %bb.13:                               ;   in Loop: Header=BB9_12 Depth=2
	v_lshl_add_u64 v[10:11], v[6:7], 2, s[6:7]
	s_mov_b32 s16, exec_lo
	global_load_b32 v0, v[10:11], off
	s_wait_loadcnt 0x0
	v_ashrrev_i32_e32 v5, 1, v0
	global_load_b32 v0, v5, s[8:9] scale_offset
	s_wait_loadcnt 0x0
	v_cmpx_ne_u32_e64 v0, v5
	s_cbranch_execz .LBB9_19
; %bb.14:                               ;   in Loop: Header=BB9_12 Depth=2
	global_load_b32 v9, v0, s[8:9] scale_offset
	s_mov_b32 s17, exec_lo
	s_wait_loadcnt 0x0
	v_cmpx_gt_i32_e64 v0, v9
	s_cbranch_execz .LBB9_18
; %bb.15:                               ;   in Loop: Header=BB9_12 Depth=2
	s_mov_b32 s18, 0
.LBB9_16:                               ;   Parent Loop BB9_3 Depth=1
                                        ;     Parent Loop BB9_12 Depth=2
                                        ; =>    This Inner Loop Header: Depth=3
	global_store_b32 v5, v9, s[8:9] scale_offset
	s_wait_xcnt 0x0
	v_dual_mov_b32 v10, v9 :: v_dual_mov_b32 v5, v0
	global_load_b32 v9, v9, s[8:9] scale_offset
	v_mov_b32_e32 v0, v10
	s_wait_loadcnt 0x0
	v_cmp_le_i32_e32 vcc_lo, v10, v9
	s_or_b32 s18, vcc_lo, s18
	s_wait_xcnt 0x0
	s_and_not1_b32 exec_lo, exec_lo, s18
	s_cbranch_execnz .LBB9_16
; %bb.17:                               ;   in Loop: Header=BB9_12 Depth=2
	s_or_b32 exec_lo, exec_lo, s18
	v_mov_b32_e32 v0, v10
.LBB9_18:                               ;   in Loop: Header=BB9_12 Depth=2
	s_or_b32 exec_lo, exec_lo, s17
	s_delay_alu instid0(VALU_DEP_1)
	v_mov_b32_e32 v5, v0
.LBB9_19:                               ;   in Loop: Header=BB9_12 Depth=2
	s_or_b32 exec_lo, exec_lo, s16
	s_mov_b32 s16, 0
                                        ; implicit-def: $sgpr17
	s_branch .LBB9_22
.LBB9_20:                               ;   in Loop: Header=BB9_22 Depth=3
	s_or_b32 exec_lo, exec_lo, s20
	v_mov_b32_e32 v0, v5
	s_and_not1_b32 s17, s17, exec_lo
	s_and_b32 s19, s19, exec_lo
	s_delay_alu instid0(SALU_CYCLE_1)
	s_or_b32 s17, s17, s19
.LBB9_21:                               ;   in Loop: Header=BB9_22 Depth=3
	s_or_b32 exec_lo, exec_lo, s18
	s_xor_b32 s18, s17, -1
	v_mov_b32_e32 v5, v0
	s_and_b32 s18, exec_lo, s18
	s_delay_alu instid0(SALU_CYCLE_1) | instskip(NEXT) | instid1(SALU_CYCLE_1)
	s_or_b32 s16, s18, s16
	s_and_not1_b32 exec_lo, exec_lo, s16
	s_cbranch_execz .LBB9_27
.LBB9_22:                               ;   Parent Loop BB9_3 Depth=1
                                        ;     Parent Loop BB9_12 Depth=2
                                        ; =>    This Inner Loop Header: Depth=3
	v_mov_b32_e32 v0, v4
	s_and_not1_b32 s17, s17, exec_lo
	s_mov_b32 s18, exec_lo
	v_cmpx_ne_u32_e64 v4, v5
	s_cbranch_execz .LBB9_21
; %bb.23:                               ;   in Loop: Header=BB9_22 Depth=3
	s_mov_b32 s20, exec_lo
                                        ; implicit-def: $sgpr19
	v_cmpx_ge_i32_e64 v4, v5
	s_xor_b32 s20, exec_lo, s20
	s_cbranch_execz .LBB9_25
; %bb.24:                               ;   in Loop: Header=BB9_22 Depth=3
	v_dual_mov_b32 v10, v5 :: v_dual_mov_b32 v11, v4
	global_atomic_cmpswap_b32 v0, v4, v[10:11], s[8:9] scale_offset th:TH_ATOMIC_RETURN scope:SCOPE_DEV
	s_wait_loadcnt 0x0
	v_cmp_ne_u32_e64 s19, v0, v4
	s_wait_xcnt 0x0
	v_mov_b32_e32 v4, v0
.LBB9_25:                               ;   in Loop: Header=BB9_22 Depth=3
	s_and_not1_saveexec_b32 s20, s20
	s_cbranch_execz .LBB9_20
; %bb.26:                               ;   in Loop: Header=BB9_22 Depth=3
	global_atomic_cmpswap_b32 v0, v5, v[4:5], s[8:9] scale_offset th:TH_ATOMIC_RETURN scope:SCOPE_DEV
	s_and_not1_b32 s19, s19, exec_lo
	s_wait_loadcnt 0x0
	v_cmp_ne_u32_e32 vcc_lo, v0, v5
	s_wait_xcnt 0x0
	v_mov_b32_e32 v5, v0
	s_and_b32 s21, vcc_lo, exec_lo
	s_delay_alu instid0(SALU_CYCLE_1)
	s_or_b32 s19, s19, s21
	s_branch .LBB9_20
.LBB9_27:                               ;   in Loop: Header=BB9_12 Depth=2
	s_or_b32 exec_lo, exec_lo, s16
.LBB9_28:                               ;   in Loop: Header=BB9_12 Depth=2
	s_and_not1_saveexec_b32 s15, s15
	s_cbranch_execz .LBB9_11
; %bb.29:                               ;   in Loop: Header=BB9_12 Depth=2
	v_lshl_add_u64 v[10:11], v[6:7], 2, s[12:13]
	global_load_b32 v0, v[10:11], off
	s_wait_loadcnt 0x0
	v_add_nc_u32_e32 v0, 1, v0
	global_store_b32 v[10:11], v0, off
	s_branch .LBB9_11
.LBB9_30:
	s_endpgm
	.section	.rodata,"a",@progbits
	.p2align	6, 0x0
	.amdhsa_kernel _ZL8compute1iPKiS0_PiPKbS1_
		.amdhsa_group_segment_fixed_size 0
		.amdhsa_private_segment_fixed_size 0
		.amdhsa_kernarg_size 304
		.amdhsa_user_sgpr_count 2
		.amdhsa_user_sgpr_dispatch_ptr 0
		.amdhsa_user_sgpr_queue_ptr 0
		.amdhsa_user_sgpr_kernarg_segment_ptr 1
		.amdhsa_user_sgpr_dispatch_id 0
		.amdhsa_user_sgpr_kernarg_preload_length 0
		.amdhsa_user_sgpr_kernarg_preload_offset 0
		.amdhsa_user_sgpr_private_segment_size 0
		.amdhsa_wavefront_size32 1
		.amdhsa_uses_dynamic_stack 0
		.amdhsa_enable_private_segment 0
		.amdhsa_system_sgpr_workgroup_id_x 1
		.amdhsa_system_sgpr_workgroup_id_y 0
		.amdhsa_system_sgpr_workgroup_id_z 0
		.amdhsa_system_sgpr_workgroup_info 0
		.amdhsa_system_vgpr_workitem_id 0
		.amdhsa_next_free_vgpr 12
		.amdhsa_next_free_sgpr 22
		.amdhsa_named_barrier_count 0
		.amdhsa_reserve_vcc 1
		.amdhsa_float_round_mode_32 0
		.amdhsa_float_round_mode_16_64 0
		.amdhsa_float_denorm_mode_32 3
		.amdhsa_float_denorm_mode_16_64 3
		.amdhsa_fp16_overflow 0
		.amdhsa_memory_ordered 1
		.amdhsa_forward_progress 1
		.amdhsa_inst_pref_size 8
		.amdhsa_round_robin_scheduling 0
		.amdhsa_exception_fp_ieee_invalid_op 0
		.amdhsa_exception_fp_denorm_src 0
		.amdhsa_exception_fp_ieee_div_zero 0
		.amdhsa_exception_fp_ieee_overflow 0
		.amdhsa_exception_fp_ieee_underflow 0
		.amdhsa_exception_fp_ieee_inexact 0
		.amdhsa_exception_int_div_zero 0
	.end_amdhsa_kernel
	.section	.text._ZL8compute1iPKiS0_PiPKbS1_,"axG",@progbits,_ZL8compute1iPKiS0_PiPKbS1_,comdat
.Lfunc_end9:
	.size	_ZL8compute1iPKiS0_PiPKbS1_, .Lfunc_end9-_ZL8compute1iPKiS0_PiPKbS1_
                                        ; -- End function
	.set _ZL8compute1iPKiS0_PiPKbS1_.num_vgpr, 12
	.set _ZL8compute1iPKiS0_PiPKbS1_.num_agpr, 0
	.set _ZL8compute1iPKiS0_PiPKbS1_.numbered_sgpr, 22
	.set _ZL8compute1iPKiS0_PiPKbS1_.num_named_barrier, 0
	.set _ZL8compute1iPKiS0_PiPKbS1_.private_seg_size, 0
	.set _ZL8compute1iPKiS0_PiPKbS1_.uses_vcc, 1
	.set _ZL8compute1iPKiS0_PiPKbS1_.uses_flat_scratch, 0
	.set _ZL8compute1iPKiS0_PiPKbS1_.has_dyn_sized_stack, 0
	.set _ZL8compute1iPKiS0_PiPKbS1_.has_recursion, 0
	.set _ZL8compute1iPKiS0_PiPKbS1_.has_indirect_call, 0
	.section	.AMDGPU.csdata,"",@progbits
; Kernel info:
; codeLenInByte = 932
; TotalNumSgprs: 24
; NumVgprs: 12
; ScratchSize: 0
; MemoryBound: 0
; FloatMode: 240
; IeeeMode: 1
; LDSByteSize: 0 bytes/workgroup (compile time only)
; SGPRBlocks: 0
; VGPRBlocks: 0
; NumSGPRsForWavesPerEU: 24
; NumVGPRsForWavesPerEU: 12
; NamedBarCnt: 0
; Occupancy: 16
; WaveLimiterHint : 1
; COMPUTE_PGM_RSRC2:SCRATCH_EN: 0
; COMPUTE_PGM_RSRC2:USER_SGPR: 2
; COMPUTE_PGM_RSRC2:TRAP_HANDLER: 0
; COMPUTE_PGM_RSRC2:TGID_X_EN: 1
; COMPUTE_PGM_RSRC2:TGID_Y_EN: 0
; COMPUTE_PGM_RSRC2:TGID_Z_EN: 0
; COMPUTE_PGM_RSRC2:TIDIG_COMP_CNT: 0
	.section	.text._ZL7flatteniPi,"axG",@progbits,_ZL7flatteniPi,comdat
	.globl	_ZL7flatteniPi                  ; -- Begin function _ZL7flatteniPi
	.p2align	8
	.type	_ZL7flatteniPi,@function
_ZL7flatteniPi:                         ; @_ZL7flatteniPi
; %bb.0:
	s_load_b32 s2, s[0:1], 0x0
	s_bfe_u32 s3, ttmp6, 0x4000c
	s_and_b32 s4, ttmp6, 15
	s_add_co_i32 s3, s3, 1
	s_getreg_b32 s5, hwreg(HW_REG_IB_STS2, 6, 4)
	s_mul_i32 s3, ttmp9, s3
	s_delay_alu instid0(SALU_CYCLE_1)
	s_add_co_i32 s4, s4, s3
	s_cmp_eq_u32 s5, 0
	s_cselect_b32 s3, ttmp9, s4
	s_mov_b32 s4, exec_lo
	v_lshl_add_u32 v0, s3, 8, v0
	s_mov_b32 s3, 0
	s_wait_kmcnt 0x0
	s_delay_alu instid0(VALU_DEP_1)
	v_cmpx_gt_i32_e64 s2, v0
	s_cbranch_execz .LBB10_7
; %bb.1:
	s_load_b96 s[4:6], s[0:1], 0x8
	s_wait_kmcnt 0x0
	s_lshl_b32 s0, s6, 8
	s_branch .LBB10_3
.LBB10_2:                               ;   in Loop: Header=BB10_3 Depth=1
	s_wait_xcnt 0x0
	s_or_b32 exec_lo, exec_lo, s1
	v_add_nc_u32_e32 v0, s0, v0
	s_delay_alu instid0(VALU_DEP_1) | instskip(SKIP_1) | instid1(SALU_CYCLE_1)
	v_cmp_le_i32_e32 vcc_lo, s2, v0
	s_or_b32 s3, vcc_lo, s3
	s_and_not1_b32 exec_lo, exec_lo, s3
	s_cbranch_execz .LBB10_7
.LBB10_3:                               ; =>This Loop Header: Depth=1
                                        ;     Child Loop BB10_4 Depth 2
	global_load_b32 v4, v0, s[4:5] scale_offset
	v_ashrrev_i32_e32 v1, 31, v0
	s_mov_b32 s1, 0
	s_wait_loadcnt 0x0
	v_mov_b32_e32 v5, v4
	s_delay_alu instid0(VALU_DEP_2)
	v_lshl_add_u64 v[2:3], v[0:1], 2, s[4:5]
.LBB10_4:                               ;   Parent Loop BB10_3 Depth=1
                                        ; =>  This Inner Loop Header: Depth=2
	s_delay_alu instid0(VALU_DEP_2)
	v_mov_b32_e32 v1, v5
	global_load_b32 v5, v5, s[4:5] scale_offset
	s_wait_loadcnt 0x0
	v_cmp_le_i32_e32 vcc_lo, v1, v5
	s_or_b32 s1, vcc_lo, s1
	s_wait_xcnt 0x0
	s_and_not1_b32 exec_lo, exec_lo, s1
	s_cbranch_execnz .LBB10_4
; %bb.5:                                ;   in Loop: Header=BB10_3 Depth=1
	s_or_b32 exec_lo, exec_lo, s1
	s_delay_alu instid0(SALU_CYCLE_1)
	s_mov_b32 s1, exec_lo
	v_cmpx_ne_u32_e64 v4, v1
	s_cbranch_execz .LBB10_2
; %bb.6:                                ;   in Loop: Header=BB10_3 Depth=1
	global_store_b32 v[2:3], v1, off
	s_branch .LBB10_2
.LBB10_7:
	s_endpgm
	.section	.rodata,"a",@progbits
	.p2align	6, 0x0
	.amdhsa_kernel _ZL7flatteniPi
		.amdhsa_group_segment_fixed_size 0
		.amdhsa_private_segment_fixed_size 0
		.amdhsa_kernarg_size 272
		.amdhsa_user_sgpr_count 2
		.amdhsa_user_sgpr_dispatch_ptr 0
		.amdhsa_user_sgpr_queue_ptr 0
		.amdhsa_user_sgpr_kernarg_segment_ptr 1
		.amdhsa_user_sgpr_dispatch_id 0
		.amdhsa_user_sgpr_kernarg_preload_length 0
		.amdhsa_user_sgpr_kernarg_preload_offset 0
		.amdhsa_user_sgpr_private_segment_size 0
		.amdhsa_wavefront_size32 1
		.amdhsa_uses_dynamic_stack 0
		.amdhsa_enable_private_segment 0
		.amdhsa_system_sgpr_workgroup_id_x 1
		.amdhsa_system_sgpr_workgroup_id_y 0
		.amdhsa_system_sgpr_workgroup_id_z 0
		.amdhsa_system_sgpr_workgroup_info 0
		.amdhsa_system_vgpr_workitem_id 0
		.amdhsa_next_free_vgpr 6
		.amdhsa_next_free_sgpr 7
		.amdhsa_named_barrier_count 0
		.amdhsa_reserve_vcc 1
		.amdhsa_float_round_mode_32 0
		.amdhsa_float_round_mode_16_64 0
		.amdhsa_float_denorm_mode_32 3
		.amdhsa_float_denorm_mode_16_64 3
		.amdhsa_fp16_overflow 0
		.amdhsa_memory_ordered 1
		.amdhsa_forward_progress 1
		.amdhsa_inst_pref_size 3
		.amdhsa_round_robin_scheduling 0
		.amdhsa_exception_fp_ieee_invalid_op 0
		.amdhsa_exception_fp_denorm_src 0
		.amdhsa_exception_fp_ieee_div_zero 0
		.amdhsa_exception_fp_ieee_overflow 0
		.amdhsa_exception_fp_ieee_underflow 0
		.amdhsa_exception_fp_ieee_inexact 0
		.amdhsa_exception_int_div_zero 0
	.end_amdhsa_kernel
	.section	.text._ZL7flatteniPi,"axG",@progbits,_ZL7flatteniPi,comdat
.Lfunc_end10:
	.size	_ZL7flatteniPi, .Lfunc_end10-_ZL7flatteniPi
                                        ; -- End function
	.set _ZL7flatteniPi.num_vgpr, 6
	.set _ZL7flatteniPi.num_agpr, 0
	.set _ZL7flatteniPi.numbered_sgpr, 7
	.set _ZL7flatteniPi.num_named_barrier, 0
	.set _ZL7flatteniPi.private_seg_size, 0
	.set _ZL7flatteniPi.uses_vcc, 1
	.set _ZL7flatteniPi.uses_flat_scratch, 0
	.set _ZL7flatteniPi.has_dyn_sized_stack, 0
	.set _ZL7flatteniPi.has_recursion, 0
	.set _ZL7flatteniPi.has_indirect_call, 0
	.section	.AMDGPU.csdata,"",@progbits
; Kernel info:
; codeLenInByte = 264
; TotalNumSgprs: 9
; NumVgprs: 6
; ScratchSize: 0
; MemoryBound: 0
; FloatMode: 240
; IeeeMode: 1
; LDSByteSize: 0 bytes/workgroup (compile time only)
; SGPRBlocks: 0
; VGPRBlocks: 0
; NumSGPRsForWavesPerEU: 9
; NumVGPRsForWavesPerEU: 6
; NamedBarCnt: 0
; Occupancy: 16
; WaveLimiterHint : 0
; COMPUTE_PGM_RSRC2:SCRATCH_EN: 0
; COMPUTE_PGM_RSRC2:USER_SGPR: 2
; COMPUTE_PGM_RSRC2:TRAP_HANDLER: 0
; COMPUTE_PGM_RSRC2:TGID_X_EN: 1
; COMPUTE_PGM_RSRC2:TGID_Y_EN: 0
; COMPUTE_PGM_RSRC2:TGID_Z_EN: 0
; COMPUTE_PGM_RSRC2:TIDIG_COMP_CNT: 0
	.section	.text._ZL6ccSizeiPKiPi,"axG",@progbits,_ZL6ccSizeiPKiPi,comdat
	.globl	_ZL6ccSizeiPKiPi                ; -- Begin function _ZL6ccSizeiPKiPi
	.p2align	8
	.type	_ZL6ccSizeiPKiPi,@function
_ZL6ccSizeiPKiPi:                       ; @_ZL6ccSizeiPKiPi
; %bb.0:
	s_load_b32 s4, s[0:1], 0x18
	s_bfe_u32 s2, ttmp6, 0x4000c
	s_and_b32 s3, ttmp6, 15
	s_add_co_i32 s2, s2, 1
	s_getreg_b32 s5, hwreg(HW_REG_IB_STS2, 6, 4)
	s_mul_i32 s2, ttmp9, s2
	s_delay_alu instid0(SALU_CYCLE_1) | instskip(SKIP_2) | instid1(SALU_CYCLE_1)
	s_add_co_i32 s3, s3, s2
	s_cmp_eq_u32 s5, 0
	s_cselect_b32 s2, ttmp9, s3
	v_lshl_add_u32 v0, s2, 8, v0
	s_mov_b32 s2, exec_lo
	s_delay_alu instid0(VALU_DEP_1)
	v_cmpx_eq_u32_e32 0, v0
	s_cbranch_execz .LBB11_2
; %bb.1:
	v_mov_b64_e32 v[2:3], 0
	v_mov_b32_e32 v1, 0
	s_get_pc_i64 s[6:7]
	s_add_nc_u64 s[6:7], s[6:7], _ZL2hi@rel64+4
	s_get_pc_i64 s[8:9]
	s_add_nc_u64 s[8:9], s[8:9], _ZL5wSize@rel64+4
	s_clause 0x1
	global_store_b64 v1, v[2:3], s[6:7]
	global_store_b32 v1, v1, s[8:9]
.LBB11_2:
	s_wait_xcnt 0x0
	s_or_b32 exec_lo, exec_lo, s2
	s_load_b32 s6, s[0:1], 0x0
	s_mov_b32 s2, exec_lo
	s_wait_kmcnt 0x0
	v_cmpx_gt_i32_e64 s6, v0
	s_cbranch_execz .LBB11_5
; %bb.3:
	s_load_b128 s[0:3], s[0:1], 0x8
	v_ashrrev_i32_e32 v1, 31, v0
	s_lshl_b32 s4, s4, 8
	s_delay_alu instid0(SALU_CYCLE_1) | instskip(SKIP_1) | instid1(VALU_DEP_1)
	s_ashr_i32 s5, s4, 31
	s_wait_kmcnt 0x0
	v_lshl_add_u64 v[2:3], v[0:1], 2, s[0:1]
	v_mov_b32_e32 v1, 1
	s_lshl_b64 s[0:1], s[4:5], 2
	s_mov_b32 s5, 0
.LBB11_4:                               ; =>This Inner Loop Header: Depth=1
	global_load_b32 v4, v[2:3], off
	v_add_nc_u32_e32 v0, s4, v0
	s_wait_xcnt 0x0
	v_add_nc_u64_e32 v[2:3], s[0:1], v[2:3]
	s_delay_alu instid0(VALU_DEP_2)
	v_cmp_le_i32_e32 vcc_lo, s6, v0
	s_or_b32 s5, vcc_lo, s5
	s_wait_loadcnt 0x0
	global_atomic_add_u32 v4, v1, s[2:3] scale_offset scope:SCOPE_DEV
	s_wait_xcnt 0x0
	s_and_not1_b32 exec_lo, exec_lo, s5
	s_cbranch_execnz .LBB11_4
.LBB11_5:
	s_endpgm
	.section	.rodata,"a",@progbits
	.p2align	6, 0x0
	.amdhsa_kernel _ZL6ccSizeiPKiPi
		.amdhsa_group_segment_fixed_size 0
		.amdhsa_private_segment_fixed_size 0
		.amdhsa_kernarg_size 280
		.amdhsa_user_sgpr_count 2
		.amdhsa_user_sgpr_dispatch_ptr 0
		.amdhsa_user_sgpr_queue_ptr 0
		.amdhsa_user_sgpr_kernarg_segment_ptr 1
		.amdhsa_user_sgpr_dispatch_id 0
		.amdhsa_user_sgpr_kernarg_preload_length 0
		.amdhsa_user_sgpr_kernarg_preload_offset 0
		.amdhsa_user_sgpr_private_segment_size 0
		.amdhsa_wavefront_size32 1
		.amdhsa_uses_dynamic_stack 0
		.amdhsa_enable_private_segment 0
		.amdhsa_system_sgpr_workgroup_id_x 1
		.amdhsa_system_sgpr_workgroup_id_y 0
		.amdhsa_system_sgpr_workgroup_id_z 0
		.amdhsa_system_sgpr_workgroup_info 0
		.amdhsa_system_vgpr_workitem_id 0
		.amdhsa_next_free_vgpr 5
		.amdhsa_next_free_sgpr 10
		.amdhsa_named_barrier_count 0
		.amdhsa_reserve_vcc 1
		.amdhsa_float_round_mode_32 0
		.amdhsa_float_round_mode_16_64 0
		.amdhsa_float_denorm_mode_32 3
		.amdhsa_float_denorm_mode_16_64 3
		.amdhsa_fp16_overflow 0
		.amdhsa_memory_ordered 1
		.amdhsa_forward_progress 1
		.amdhsa_inst_pref_size 3
		.amdhsa_round_robin_scheduling 0
		.amdhsa_exception_fp_ieee_invalid_op 0
		.amdhsa_exception_fp_denorm_src 0
		.amdhsa_exception_fp_ieee_div_zero 0
		.amdhsa_exception_fp_ieee_overflow 0
		.amdhsa_exception_fp_ieee_underflow 0
		.amdhsa_exception_fp_ieee_inexact 0
		.amdhsa_exception_int_div_zero 0
	.end_amdhsa_kernel
	.section	.text._ZL6ccSizeiPKiPi,"axG",@progbits,_ZL6ccSizeiPKiPi,comdat
.Lfunc_end11:
	.size	_ZL6ccSizeiPKiPi, .Lfunc_end11-_ZL6ccSizeiPKiPi
                                        ; -- End function
	.set _ZL6ccSizeiPKiPi.num_vgpr, 5
	.set _ZL6ccSizeiPKiPi.num_agpr, 0
	.set _ZL6ccSizeiPKiPi.numbered_sgpr, 10
	.set _ZL6ccSizeiPKiPi.num_named_barrier, 0
	.set _ZL6ccSizeiPKiPi.private_seg_size, 0
	.set _ZL6ccSizeiPKiPi.uses_vcc, 1
	.set _ZL6ccSizeiPKiPi.uses_flat_scratch, 0
	.set _ZL6ccSizeiPKiPi.has_dyn_sized_stack, 0
	.set _ZL6ccSizeiPKiPi.has_recursion, 0
	.set _ZL6ccSizeiPKiPi.has_indirect_call, 0
	.section	.AMDGPU.csdata,"",@progbits
; Kernel info:
; codeLenInByte = 292
; TotalNumSgprs: 12
; NumVgprs: 5
; ScratchSize: 0
; MemoryBound: 0
; FloatMode: 240
; IeeeMode: 1
; LDSByteSize: 0 bytes/workgroup (compile time only)
; SGPRBlocks: 0
; VGPRBlocks: 0
; NumSGPRsForWavesPerEU: 12
; NumVGPRsForWavesPerEU: 5
; NamedBarCnt: 0
; Occupancy: 16
; WaveLimiterHint : 1
; COMPUTE_PGM_RSRC2:SCRATCH_EN: 0
; COMPUTE_PGM_RSRC2:USER_SGPR: 2
; COMPUTE_PGM_RSRC2:TRAP_HANDLER: 0
; COMPUTE_PGM_RSRC2:TGID_X_EN: 1
; COMPUTE_PGM_RSRC2:TGID_Y_EN: 0
; COMPUTE_PGM_RSRC2:TGID_Z_EN: 0
; COMPUTE_PGM_RSRC2:TIDIG_COMP_CNT: 0
	.section	.text._ZL9largestCCiPKi,"axG",@progbits,_ZL9largestCCiPKi,comdat
	.globl	_ZL9largestCCiPKi               ; -- Begin function _ZL9largestCCiPKi
	.p2align	8
	.type	_ZL9largestCCiPKi,@function
_ZL9largestCCiPKi:                      ; @_ZL9largestCCiPKi
; %bb.0:
	s_load_b32 s7, s[0:1], 0x0
	s_bfe_u32 s2, ttmp6, 0x4000c
	s_and_b32 s3, ttmp6, 15
	s_add_co_i32 s2, s2, 1
	s_getreg_b32 s4, hwreg(HW_REG_IB_STS2, 6, 4)
	s_mul_i32 s2, ttmp9, s2
	s_mov_b32 s8, 0
	s_add_co_i32 s3, s3, s2
	s_cmp_eq_u32 s4, 0
	s_cselect_b32 s2, ttmp9, s3
	s_delay_alu instid0(SALU_CYCLE_1) | instskip(SKIP_2) | instid1(VALU_DEP_1)
	v_lshl_add_u32 v0, s2, 8, v0
	s_mov_b32 s2, exec_lo
	s_wait_kmcnt 0x0
	v_cmpx_gt_i32_e64 s7, v0
	s_cbranch_execz .LBB12_9
; %bb.1:
	s_get_pc_i64 s[2:3]
	s_add_nc_u64 s[2:3], s[2:3], _ZL2hi@rel64+4
	v_mov_b32_e32 v6, 0
	s_load_b64 s[10:11], s[2:3], 0x0
	s_load_b96 s[4:6], s[0:1], 0x8
	s_wait_kmcnt 0x0
	v_mov_b64_e32 v[2:3], s[10:11]
	s_lshl_b32 s0, s6, 8
	s_branch .LBB12_4
.LBB12_2:                               ;   in Loop: Header=BB12_4 Depth=1
	s_wait_xcnt 0x0
	s_or_b32 exec_lo, exec_lo, s6
.LBB12_3:                               ;   in Loop: Header=BB12_4 Depth=1
	s_delay_alu instid0(SALU_CYCLE_1) | instskip(SKIP_1) | instid1(VALU_DEP_1)
	s_or_b32 exec_lo, exec_lo, s1
	v_add_nc_u32_e32 v0, s0, v0
	v_cmp_le_i32_e32 vcc_lo, s7, v0
	s_or_b32 s8, vcc_lo, s8
	s_delay_alu instid0(SALU_CYCLE_1)
	s_and_not1_b32 exec_lo, exec_lo, s8
	s_cbranch_execz .LBB12_9
.LBB12_4:                               ; =>This Loop Header: Depth=1
                                        ;     Child Loop BB12_6 Depth 2
	global_load_b32 v1, v0, s[4:5] scale_offset
	v_ashrrev_i32_e32 v4, 31, v0
	s_mov_b32 s1, exec_lo
	s_wait_loadcnt 0x0
	s_delay_alu instid0(VALU_DEP_1) | instskip(SKIP_1) | instid1(VALU_DEP_1)
	v_or_b32_e32 v1, v1, v4
	s_wait_xcnt 0x0
	v_cmpx_lt_u64_e64 v[2:3], v[0:1]
	s_cbranch_execz .LBB12_3
; %bb.5:                                ;   in Loop: Header=BB12_4 Depth=1
	v_mov_b64_e32 v[4:5], 0
	s_mov_b32 s6, exec_lo
.LBB12_6:                               ;   Parent Loop BB12_4 Depth=1
                                        ; =>  This Inner Loop Header: Depth=2
	s_delay_alu instid0(SALU_CYCLE_1) | instskip(NEXT) | instid1(SALU_CYCLE_1)
	s_ctz_i32_b32 s9, s6
	v_readlane_b32 s11, v1, s9
	v_readlane_b32 s10, v0, s9
	s_lshl_b32 s9, 1, s9
	s_delay_alu instid0(SALU_CYCLE_1)
	s_and_not1_b32 s6, s6, s9
	v_max_u64 v[4:5], v[4:5], s[10:11]
	s_cmp_lg_u32 s6, 0
	s_cbranch_scc1 .LBB12_6
; %bb.7:                                ;   in Loop: Header=BB12_4 Depth=1
	v_mbcnt_lo_u32_b32 v1, exec_lo, 0
	s_mov_b32 s6, exec_lo
	s_delay_alu instid0(VALU_DEP_1)
	v_cmpx_eq_u32_e32 0, v1
	s_xor_b32 s6, exec_lo, s6
	s_cbranch_execz .LBB12_2
; %bb.8:                                ;   in Loop: Header=BB12_4 Depth=1
	s_clause 0x1
	global_atomic_max_u64 v6, v[4:5], s[2:3] scope:SCOPE_DEV
	global_load_b64 v[2:3], v6, s[2:3]
	s_branch .LBB12_2
.LBB12_9:
	s_endpgm
	.section	.rodata,"a",@progbits
	.p2align	6, 0x0
	.amdhsa_kernel _ZL9largestCCiPKi
		.amdhsa_group_segment_fixed_size 0
		.amdhsa_private_segment_fixed_size 0
		.amdhsa_kernarg_size 272
		.amdhsa_user_sgpr_count 2
		.amdhsa_user_sgpr_dispatch_ptr 0
		.amdhsa_user_sgpr_queue_ptr 0
		.amdhsa_user_sgpr_kernarg_segment_ptr 1
		.amdhsa_user_sgpr_dispatch_id 0
		.amdhsa_user_sgpr_kernarg_preload_length 0
		.amdhsa_user_sgpr_kernarg_preload_offset 0
		.amdhsa_user_sgpr_private_segment_size 0
		.amdhsa_wavefront_size32 1
		.amdhsa_uses_dynamic_stack 0
		.amdhsa_enable_private_segment 0
		.amdhsa_system_sgpr_workgroup_id_x 1
		.amdhsa_system_sgpr_workgroup_id_y 0
		.amdhsa_system_sgpr_workgroup_id_z 0
		.amdhsa_system_sgpr_workgroup_info 0
		.amdhsa_system_vgpr_workitem_id 0
		.amdhsa_next_free_vgpr 7
		.amdhsa_next_free_sgpr 12
		.amdhsa_named_barrier_count 0
		.amdhsa_reserve_vcc 1
		.amdhsa_float_round_mode_32 0
		.amdhsa_float_round_mode_16_64 0
		.amdhsa_float_denorm_mode_32 3
		.amdhsa_float_denorm_mode_16_64 3
		.amdhsa_fp16_overflow 0
		.amdhsa_memory_ordered 1
		.amdhsa_forward_progress 1
		.amdhsa_inst_pref_size 3
		.amdhsa_round_robin_scheduling 0
		.amdhsa_exception_fp_ieee_invalid_op 0
		.amdhsa_exception_fp_denorm_src 0
		.amdhsa_exception_fp_ieee_div_zero 0
		.amdhsa_exception_fp_ieee_overflow 0
		.amdhsa_exception_fp_ieee_underflow 0
		.amdhsa_exception_fp_ieee_inexact 0
		.amdhsa_exception_int_div_zero 0
	.end_amdhsa_kernel
	.section	.text._ZL9largestCCiPKi,"axG",@progbits,_ZL9largestCCiPKi,comdat
.Lfunc_end12:
	.size	_ZL9largestCCiPKi, .Lfunc_end12-_ZL9largestCCiPKi
                                        ; -- End function
	.set _ZL9largestCCiPKi.num_vgpr, 7
	.set _ZL9largestCCiPKi.num_agpr, 0
	.set _ZL9largestCCiPKi.numbered_sgpr, 12
	.set _ZL9largestCCiPKi.num_named_barrier, 0
	.set _ZL9largestCCiPKi.private_seg_size, 0
	.set _ZL9largestCCiPKi.uses_vcc, 1
	.set _ZL9largestCCiPKi.uses_flat_scratch, 0
	.set _ZL9largestCCiPKi.has_dyn_sized_stack, 0
	.set _ZL9largestCCiPKi.has_recursion, 0
	.set _ZL9largestCCiPKi.has_indirect_call, 0
	.section	.AMDGPU.csdata,"",@progbits
; Kernel info:
; codeLenInByte = 344
; TotalNumSgprs: 14
; NumVgprs: 7
; ScratchSize: 0
; MemoryBound: 0
; FloatMode: 240
; IeeeMode: 1
; LDSByteSize: 0 bytes/workgroup (compile time only)
; SGPRBlocks: 0
; VGPRBlocks: 0
; NumSGPRsForWavesPerEU: 14
; NumVGPRsForWavesPerEU: 7
; NamedBarCnt: 0
; Occupancy: 16
; WaveLimiterHint : 0
; COMPUTE_PGM_RSRC2:SCRATCH_EN: 0
; COMPUTE_PGM_RSRC2:USER_SGPR: 2
; COMPUTE_PGM_RSRC2:TRAP_HANDLER: 0
; COMPUTE_PGM_RSRC2:TGID_X_EN: 1
; COMPUTE_PGM_RSRC2:TGID_Y_EN: 0
; COMPUTE_PGM_RSRC2:TGID_Z_EN: 0
; COMPUTE_PGM_RSRC2:TIDIG_COMP_CNT: 0
	.section	.text._ZL10ccHopCountiPKiS0_S0_PiS1_S1_,"axG",@progbits,_ZL10ccHopCountiPKiS0_S0_PiS1_S1_,comdat
	.globl	_ZL10ccHopCountiPKiS0_S0_PiS1_S1_ ; -- Begin function _ZL10ccHopCountiPKiS0_S0_PiS1_S1_
	.p2align	8
	.type	_ZL10ccHopCountiPKiS0_S0_PiS1_S1_,@function
_ZL10ccHopCountiPKiS0_S0_PiS1_S1_:      ; @_ZL10ccHopCountiPKiS0_S0_PiS1_S1_
; %bb.0:
	s_bfe_u32 s3, ttmp6, 0x4000c
	s_load_b32 s2, s[0:1], 0x0
	s_add_co_i32 s3, s3, 1
	s_and_b32 s4, ttmp6, 15
	s_mul_i32 s3, ttmp9, s3
	s_getreg_b32 s5, hwreg(HW_REG_IB_STS2, 6, 4)
	s_add_co_i32 s4, s4, s3
	s_cmp_eq_u32 s5, 0
	s_cselect_b32 s3, ttmp9, s4
	s_mov_b32 s4, exec_lo
	v_lshl_add_u32 v1, s3, 8, v0
	s_mov_b32 s3, 0
	s_delay_alu instid0(VALU_DEP_1) | instskip(SKIP_1) | instid1(VALU_DEP_1)
	v_lshrrev_b32_e32 v2, 5, v1
	s_wait_kmcnt 0x0
	v_cmpx_gt_i32_e64 s2, v2
	s_cbranch_execz .LBB13_12
; %bb.1:
	s_get_pc_i64 s[18:19]
	s_add_nc_u64 s[18:19], s[18:19], _ZL2hi@rel64+4
	v_dual_mov_b32 v3, 0 :: v_dual_bitop2_b32 v0, 31, v0 bitop3:0x40
	s_clause 0x2
	s_load_b32 s17, s[0:1], 0x38
	s_load_b128 s[12:15], s[0:1], 0x28
	s_load_b256 s[4:11], s[0:1], 0x8
	s_load_b32 s16, s[18:19], 0x0
	s_wait_xcnt 0x0
	s_get_pc_i64 s[0:1]
	s_add_nc_u64 s[0:1], s[0:1], _ZL5wSize@rel64+4
	v_mov_b32_e32 v1, v3
	s_wait_kmcnt 0x0
	s_lshl_b32 s17, s17, 3
	s_delay_alu instid0(SALU_CYCLE_1)
	s_and_b32 s17, s17, 0x7fffff8
	s_branch .LBB13_3
.LBB13_2:                               ;   in Loop: Header=BB13_3 Depth=1
	s_or_b32 exec_lo, exec_lo, s18
	v_add_nc_u32_e32 v2, s17, v2
	s_delay_alu instid0(VALU_DEP_1) | instskip(SKIP_1) | instid1(SALU_CYCLE_1)
	v_cmp_le_i32_e32 vcc_lo, s2, v2
	s_or_b32 s3, vcc_lo, s3
	s_and_not1_b32 exec_lo, exec_lo, s3
	s_cbranch_execz .LBB13_12
.LBB13_3:                               ; =>This Loop Header: Depth=1
                                        ;     Child Loop BB13_9 Depth 2
	global_load_b32 v8, v2, s[8:9] scale_offset
	s_mov_b32 s18, exec_lo
	s_wait_loadcnt 0x0
	s_wait_xcnt 0x0
	v_cmpx_eq_u32_e64 v8, v2
	s_cbranch_execz .LBB13_5
; %bb.4:                                ;   in Loop: Header=BB13_3 Depth=1
	v_cmp_eq_u32_e32 vcc_lo, s16, v2
	v_lshl_add_u64 v[4:5], v[2:3], 2, s[10:11]
	v_cndmask_b32_e64 v6, 0x7ffffffe, 0, vcc_lo
	global_store_b32 v[4:5], v6, off
.LBB13_5:                               ;   in Loop: Header=BB13_3 Depth=1
	s_wait_xcnt 0x0
	s_or_b32 exec_lo, exec_lo, s18
	v_lshl_add_u64 v[4:5], v[2:3], 2, s[4:5]
	s_mov_b32 s18, exec_lo
	global_load_b64 v[4:5], v[4:5], off
	s_wait_loadcnt 0x0
	v_add_nc_u32_e32 v9, v4, v0
	s_wait_xcnt 0x0
	s_delay_alu instid0(VALU_DEP_1)
	v_cmpx_lt_i32_e64 v9, v5
	s_cbranch_execz .LBB13_2
; %bb.6:                                ;   in Loop: Header=BB13_3 Depth=1
	v_dual_mov_b32 v6, v4 :: v_dual_ashrrev_i32 v7, 31, v4
	s_mov_b32 s19, 0
	s_delay_alu instid0(VALU_DEP_1) | instskip(NEXT) | instid1(VALU_DEP_1)
	v_add_nc_u64_e32 v[6:7], v[0:1], v[6:7]
	v_lshl_add_u64 v[6:7], v[6:7], 2, s[6:7]
	s_branch .LBB13_9
.LBB13_7:                               ;   in Loop: Header=BB13_9 Depth=2
	s_wait_xcnt 0x0
	s_or_b32 exec_lo, exec_lo, s21
	s_wait_loadcnt 0x0
	v_readfirstlane_b32 s21, v11
	s_delay_alu instid0(VALU_DEP_1)
	v_add_nc_u32_e32 v10, s21, v10
	s_clause 0x1
	global_store_b32 v10, v8, s[12:13] scale_offset
	global_store_b32 v10, v4, s[14:15] scale_offset
.LBB13_8:                               ;   in Loop: Header=BB13_9 Depth=2
	s_wait_xcnt 0x0
	s_or_b32 exec_lo, exec_lo, s20
	v_add_nc_u32_e32 v9, 32, v9
	v_add_nc_u64_e32 v[6:7], 0x80, v[6:7]
	s_delay_alu instid0(VALU_DEP_2) | instskip(SKIP_1) | instid1(SALU_CYCLE_1)
	v_cmp_ge_i32_e32 vcc_lo, v9, v5
	s_or_b32 s19, vcc_lo, s19
	s_and_not1_b32 exec_lo, exec_lo, s19
	s_cbranch_execz .LBB13_2
.LBB13_9:                               ;   Parent Loop BB13_3 Depth=1
                                        ; =>  This Inner Loop Header: Depth=2
	global_load_b32 v4, v[6:7], off
	s_mov_b32 s20, exec_lo
	s_wait_loadcnt 0x0
	v_ashrrev_i32_e32 v4, 1, v4
	global_load_b32 v4, v4, s[8:9] scale_offset
	s_wait_loadcnt 0x0
	v_cmpx_lt_i32_e64 v8, v4
	s_cbranch_execz .LBB13_8
; %bb.10:                               ;   in Loop: Header=BB13_9 Depth=2
	s_mov_b32 s22, exec_lo
	s_mov_b32 s21, exec_lo
	v_mbcnt_lo_u32_b32 v10, s22, 0
                                        ; implicit-def: $vgpr11
	s_delay_alu instid0(VALU_DEP_1)
	v_cmpx_eq_u32_e32 0, v10
	s_cbranch_execz .LBB13_7
; %bb.11:                               ;   in Loop: Header=BB13_9 Depth=2
	s_bcnt1_i32_b32 s22, s22
	s_delay_alu instid0(SALU_CYCLE_1)
	v_mov_b32_e32 v11, s22
	global_atomic_add_u32 v11, v3, v11, s[0:1] th:TH_ATOMIC_RETURN scope:SCOPE_DEV
	s_branch .LBB13_7
.LBB13_12:
	s_endpgm
	.section	.rodata,"a",@progbits
	.p2align	6, 0x0
	.amdhsa_kernel _ZL10ccHopCountiPKiS0_S0_PiS1_S1_
		.amdhsa_group_segment_fixed_size 0
		.amdhsa_private_segment_fixed_size 0
		.amdhsa_kernarg_size 312
		.amdhsa_user_sgpr_count 2
		.amdhsa_user_sgpr_dispatch_ptr 0
		.amdhsa_user_sgpr_queue_ptr 0
		.amdhsa_user_sgpr_kernarg_segment_ptr 1
		.amdhsa_user_sgpr_dispatch_id 0
		.amdhsa_user_sgpr_kernarg_preload_length 0
		.amdhsa_user_sgpr_kernarg_preload_offset 0
		.amdhsa_user_sgpr_private_segment_size 0
		.amdhsa_wavefront_size32 1
		.amdhsa_uses_dynamic_stack 0
		.amdhsa_enable_private_segment 0
		.amdhsa_system_sgpr_workgroup_id_x 1
		.amdhsa_system_sgpr_workgroup_id_y 0
		.amdhsa_system_sgpr_workgroup_id_z 0
		.amdhsa_system_sgpr_workgroup_info 0
		.amdhsa_system_vgpr_workitem_id 0
		.amdhsa_next_free_vgpr 12
		.amdhsa_next_free_sgpr 23
		.amdhsa_named_barrier_count 0
		.amdhsa_reserve_vcc 1
		.amdhsa_float_round_mode_32 0
		.amdhsa_float_round_mode_16_64 0
		.amdhsa_float_denorm_mode_32 3
		.amdhsa_float_denorm_mode_16_64 3
		.amdhsa_fp16_overflow 0
		.amdhsa_memory_ordered 1
		.amdhsa_forward_progress 1
		.amdhsa_inst_pref_size 5
		.amdhsa_round_robin_scheduling 0
		.amdhsa_exception_fp_ieee_invalid_op 0
		.amdhsa_exception_fp_denorm_src 0
		.amdhsa_exception_fp_ieee_div_zero 0
		.amdhsa_exception_fp_ieee_overflow 0
		.amdhsa_exception_fp_ieee_underflow 0
		.amdhsa_exception_fp_ieee_inexact 0
		.amdhsa_exception_int_div_zero 0
	.end_amdhsa_kernel
	.section	.text._ZL10ccHopCountiPKiS0_S0_PiS1_S1_,"axG",@progbits,_ZL10ccHopCountiPKiS0_S0_PiS1_S1_,comdat
.Lfunc_end13:
	.size	_ZL10ccHopCountiPKiS0_S0_PiS1_S1_, .Lfunc_end13-_ZL10ccHopCountiPKiS0_S0_PiS1_S1_
                                        ; -- End function
	.set _ZL10ccHopCountiPKiS0_S0_PiS1_S1_.num_vgpr, 12
	.set _ZL10ccHopCountiPKiS0_S0_PiS1_S1_.num_agpr, 0
	.set _ZL10ccHopCountiPKiS0_S0_PiS1_S1_.numbered_sgpr, 23
	.set _ZL10ccHopCountiPKiS0_S0_PiS1_S1_.num_named_barrier, 0
	.set _ZL10ccHopCountiPKiS0_S0_PiS1_S1_.private_seg_size, 0
	.set _ZL10ccHopCountiPKiS0_S0_PiS1_S1_.uses_vcc, 1
	.set _ZL10ccHopCountiPKiS0_S0_PiS1_S1_.uses_flat_scratch, 0
	.set _ZL10ccHopCountiPKiS0_S0_PiS1_S1_.has_dyn_sized_stack, 0
	.set _ZL10ccHopCountiPKiS0_S0_PiS1_S1_.has_recursion, 0
	.set _ZL10ccHopCountiPKiS0_S0_PiS1_S1_.has_indirect_call, 0
	.section	.AMDGPU.csdata,"",@progbits
; Kernel info:
; codeLenInByte = 592
; TotalNumSgprs: 25
; NumVgprs: 12
; ScratchSize: 0
; MemoryBound: 0
; FloatMode: 240
; IeeeMode: 1
; LDSByteSize: 0 bytes/workgroup (compile time only)
; SGPRBlocks: 0
; VGPRBlocks: 0
; NumSGPRsForWavesPerEU: 25
; NumVGPRsForWavesPerEU: 12
; NamedBarCnt: 0
; Occupancy: 16
; WaveLimiterHint : 1
; COMPUTE_PGM_RSRC2:SCRATCH_EN: 0
; COMPUTE_PGM_RSRC2:USER_SGPR: 2
; COMPUTE_PGM_RSRC2:TRAP_HANDLER: 0
; COMPUTE_PGM_RSRC2:TGID_X_EN: 1
; COMPUTE_PGM_RSRC2:TGID_Y_EN: 0
; COMPUTE_PGM_RSRC2:TGID_Z_EN: 0
; COMPUTE_PGM_RSRC2:TIDIG_COMP_CNT: 0
	.section	.text._ZL11BellmanFordPiPbPKiS2_,"axG",@progbits,_ZL11BellmanFordPiPbPKiS2_,comdat
	.globl	_ZL11BellmanFordPiPbPKiS2_      ; -- Begin function _ZL11BellmanFordPiPbPKiS2_
	.p2align	8
	.type	_ZL11BellmanFordPiPbPKiS2_,@function
_ZL11BellmanFordPiPbPKiS2_:             ; @_ZL11BellmanFordPiPbPKiS2_
; %bb.0:
	s_get_pc_i64 s[2:3]
	s_add_nc_u64 s[2:3], s[2:3], _ZL5wSize@rel64+4
	s_getreg_b32 s4, hwreg(HW_REG_IB_STS2, 6, 4)
	s_load_b32 s12, s[2:3], 0x0
	s_wait_xcnt 0x0
	s_bfe_u32 s2, ttmp6, 0x4000c
	s_and_b32 s3, ttmp6, 15
	s_add_co_i32 s2, s2, 1
	s_mov_b32 s13, 0
	s_mul_i32 s2, ttmp9, s2
	s_delay_alu instid0(SALU_CYCLE_1) | instskip(SKIP_2) | instid1(SALU_CYCLE_1)
	s_add_co_i32 s3, s3, s2
	s_cmp_eq_u32 s4, 0
	s_cselect_b32 s2, ttmp9, s3
	v_lshl_add_u32 v0, s2, 8, v0
	s_mov_b32 s2, exec_lo
	s_wait_kmcnt 0x0
	s_delay_alu instid0(VALU_DEP_1)
	v_cmpx_gt_i32_e64 s12, v0
	s_cbranch_execz .LBB14_11
; %bb.1:
	s_clause 0x1
	s_load_b32 s2, s[0:1], 0x20
	s_load_b256 s[4:11], s[0:1], 0x0
	v_dual_mov_b32 v8, 1 :: v_dual_ashrrev_i32 v1, 31, v0
	s_delay_alu instid0(VALU_DEP_1) | instskip(SKIP_3) | instid1(SALU_CYCLE_1)
	v_lshlrev_b64_e32 v[2:3], 2, v[0:1]
	v_mov_b32_e32 v1, 0
	s_wait_kmcnt 0x0
	s_lshl_b32 s0, s2, 8
	s_ashr_i32 s1, s0, 31
	s_delay_alu instid0(SALU_CYCLE_1)
	s_lshl_b64 s[2:3], s[0:1], 2
	s_branch .LBB14_3
.LBB14_2:                               ;   in Loop: Header=BB14_3 Depth=1
	s_wait_xcnt 0x0
	s_or_b32 exec_lo, exec_lo, s14
	v_add_nc_u32_e32 v0, s0, v0
	v_add_nc_u64_e32 v[2:3], s[2:3], v[2:3]
	s_delay_alu instid0(VALU_DEP_2) | instskip(SKIP_1) | instid1(SALU_CYCLE_1)
	v_cmp_le_i32_e32 vcc_lo, s12, v0
	s_or_b32 s13, vcc_lo, s13
	s_and_not1_b32 exec_lo, exec_lo, s13
	s_cbranch_execz .LBB14_11
.LBB14_3:                               ; =>This Inner Loop Header: Depth=1
	s_delay_alu instid0(VALU_DEP_2)
	v_add_nc_u64_e32 v[10:11], s[8:9], v[2:3]
	v_add_nc_u64_e32 v[12:13], s[10:11], v[2:3]
	s_mov_b32 s1, 0
	s_mov_b32 s14, exec_lo
	global_load_b32 v4, v[10:11], off
	global_load_b32 v6, v[12:13], off
	s_wait_loadcnt 0x1
	global_load_b32 v7, v4, s[4:5] scale_offset
	s_wait_loadcnt 0x1
	global_load_b32 v9, v6, s[4:5] scale_offset
	s_wait_loadcnt 0x1
	v_add_nc_u32_e32 v5, 1, v7
	s_wait_loadcnt 0x0
	s_wait_xcnt 0x0
	s_delay_alu instid0(VALU_DEP_1)
	v_cmpx_ge_i32_e64 v5, v9
	s_xor_b32 s14, exec_lo, s14
	s_cbranch_execnz .LBB14_6
; %bb.4:                                ;   in Loop: Header=BB14_3 Depth=1
	s_and_not1_saveexec_b32 s14, s14
	s_cbranch_execnz .LBB14_9
.LBB14_5:                               ;   in Loop: Header=BB14_3 Depth=1
	s_or_b32 exec_lo, exec_lo, s14
	s_and_saveexec_b32 s14, s1
	s_cbranch_execz .LBB14_2
	s_branch .LBB14_10
.LBB14_6:                               ;   in Loop: Header=BB14_3 Depth=1
	v_add_nc_u32_e32 v6, 1, v9
	s_mov_b32 s15, exec_lo
	s_delay_alu instid0(VALU_DEP_1)
	v_cmpx_lt_i32_e64 v6, v7
	s_xor_b32 s15, exec_lo, s15
	s_cbranch_execz .LBB14_8
; %bb.7:                                ;   in Loop: Header=BB14_3 Depth=1
	v_ashrrev_i32_e32 v5, 31, v4
	s_mov_b32 s1, exec_lo
	s_delay_alu instid0(VALU_DEP_1)
	v_lshl_add_u64 v[4:5], v[4:5], 2, s[4:5]
	global_store_b32 v[4:5], v6, off
.LBB14_8:                               ;   in Loop: Header=BB14_3 Depth=1
	s_wait_xcnt 0x0
	s_or_b32 exec_lo, exec_lo, s15
	s_delay_alu instid0(SALU_CYCLE_1)
	s_and_b32 s1, s1, exec_lo
                                        ; implicit-def: $vgpr6
                                        ; implicit-def: $vgpr5
	s_and_not1_saveexec_b32 s14, s14
	s_cbranch_execz .LBB14_5
.LBB14_9:                               ;   in Loop: Header=BB14_3 Depth=1
	v_ashrrev_i32_e32 v7, 31, v6
	s_or_b32 s1, s1, exec_lo
	s_delay_alu instid0(VALU_DEP_1)
	v_lshl_add_u64 v[6:7], v[6:7], 2, s[4:5]
	global_store_b32 v[6:7], v5, off
	s_wait_xcnt 0x0
	s_or_b32 exec_lo, exec_lo, s14
	s_and_saveexec_b32 s14, s1
	s_cbranch_execz .LBB14_2
.LBB14_10:                              ;   in Loop: Header=BB14_3 Depth=1
	global_store_b8 v1, v8, s[6:7]
	s_branch .LBB14_2
.LBB14_11:
	s_endpgm
	.section	.rodata,"a",@progbits
	.p2align	6, 0x0
	.amdhsa_kernel _ZL11BellmanFordPiPbPKiS2_
		.amdhsa_group_segment_fixed_size 0
		.amdhsa_private_segment_fixed_size 0
		.amdhsa_kernarg_size 288
		.amdhsa_user_sgpr_count 2
		.amdhsa_user_sgpr_dispatch_ptr 0
		.amdhsa_user_sgpr_queue_ptr 0
		.amdhsa_user_sgpr_kernarg_segment_ptr 1
		.amdhsa_user_sgpr_dispatch_id 0
		.amdhsa_user_sgpr_kernarg_preload_length 0
		.amdhsa_user_sgpr_kernarg_preload_offset 0
		.amdhsa_user_sgpr_private_segment_size 0
		.amdhsa_wavefront_size32 1
		.amdhsa_uses_dynamic_stack 0
		.amdhsa_enable_private_segment 0
		.amdhsa_system_sgpr_workgroup_id_x 1
		.amdhsa_system_sgpr_workgroup_id_y 0
		.amdhsa_system_sgpr_workgroup_id_z 0
		.amdhsa_system_sgpr_workgroup_info 0
		.amdhsa_system_vgpr_workitem_id 0
		.amdhsa_next_free_vgpr 14
		.amdhsa_next_free_sgpr 16
		.amdhsa_named_barrier_count 0
		.amdhsa_reserve_vcc 1
		.amdhsa_float_round_mode_32 0
		.amdhsa_float_round_mode_16_64 0
		.amdhsa_float_denorm_mode_32 3
		.amdhsa_float_denorm_mode_16_64 3
		.amdhsa_fp16_overflow 0
		.amdhsa_memory_ordered 1
		.amdhsa_forward_progress 1
		.amdhsa_inst_pref_size 4
		.amdhsa_round_robin_scheduling 0
		.amdhsa_exception_fp_ieee_invalid_op 0
		.amdhsa_exception_fp_denorm_src 0
		.amdhsa_exception_fp_ieee_div_zero 0
		.amdhsa_exception_fp_ieee_overflow 0
		.amdhsa_exception_fp_ieee_underflow 0
		.amdhsa_exception_fp_ieee_inexact 0
		.amdhsa_exception_int_div_zero 0
	.end_amdhsa_kernel
	.section	.text._ZL11BellmanFordPiPbPKiS2_,"axG",@progbits,_ZL11BellmanFordPiPbPKiS2_,comdat
.Lfunc_end14:
	.size	_ZL11BellmanFordPiPbPKiS2_, .Lfunc_end14-_ZL11BellmanFordPiPbPKiS2_
                                        ; -- End function
	.set _ZL11BellmanFordPiPbPKiS2_.num_vgpr, 14
	.set _ZL11BellmanFordPiPbPKiS2_.num_agpr, 0
	.set _ZL11BellmanFordPiPbPKiS2_.numbered_sgpr, 16
	.set _ZL11BellmanFordPiPbPKiS2_.num_named_barrier, 0
	.set _ZL11BellmanFordPiPbPKiS2_.private_seg_size, 0
	.set _ZL11BellmanFordPiPbPKiS2_.uses_vcc, 1
	.set _ZL11BellmanFordPiPbPKiS2_.uses_flat_scratch, 0
	.set _ZL11BellmanFordPiPbPKiS2_.has_dyn_sized_stack, 0
	.set _ZL11BellmanFordPiPbPKiS2_.has_recursion, 0
	.set _ZL11BellmanFordPiPbPKiS2_.has_indirect_call, 0
	.section	.AMDGPU.csdata,"",@progbits
; Kernel info:
; codeLenInByte = 492
; TotalNumSgprs: 18
; NumVgprs: 14
; ScratchSize: 0
; MemoryBound: 0
; FloatMode: 240
; IeeeMode: 1
; LDSByteSize: 0 bytes/workgroup (compile time only)
; SGPRBlocks: 0
; VGPRBlocks: 0
; NumSGPRsForWavesPerEU: 18
; NumVGPRsForWavesPerEU: 14
; NamedBarCnt: 0
; Occupancy: 16
; WaveLimiterHint : 1
; COMPUTE_PGM_RSRC2:SCRATCH_EN: 0
; COMPUTE_PGM_RSRC2:USER_SGPR: 2
; COMPUTE_PGM_RSRC2:TRAP_HANDLER: 0
; COMPUTE_PGM_RSRC2:TGID_X_EN: 1
; COMPUTE_PGM_RSRC2:TGID_Y_EN: 0
; COMPUTE_PGM_RSRC2:TGID_Z_EN: 0
; COMPUTE_PGM_RSRC2:TIDIG_COMP_CNT: 0
	.section	.text._ZL11incrementCCiPKiS0_Pi,"axG",@progbits,_ZL11incrementCCiPKiS0_Pi,comdat
	.globl	_ZL11incrementCCiPKiS0_Pi       ; -- Begin function _ZL11incrementCCiPKiS0_Pi
	.p2align	8
	.type	_ZL11incrementCCiPKiS0_Pi,@function
_ZL11incrementCCiPKiS0_Pi:              ; @_ZL11incrementCCiPKiS0_Pi
; %bb.0:
	s_load_b32 s11, s[0:1], 0x0
	s_bfe_u32 s2, ttmp6, 0x4000c
	s_and_b32 s3, ttmp6, 15
	s_add_co_i32 s2, s2, 1
	s_getreg_b32 s4, hwreg(HW_REG_IB_STS2, 6, 4)
	s_mul_i32 s2, ttmp9, s2
	s_mov_b32 s12, 0
	s_add_co_i32 s3, s3, s2
	s_cmp_eq_u32 s4, 0
	s_cselect_b32 s2, ttmp9, s3
	s_delay_alu instid0(SALU_CYCLE_1) | instskip(SKIP_2) | instid1(VALU_DEP_1)
	v_lshl_add_u32 v0, s2, 8, v0
	s_mov_b32 s2, exec_lo
	s_wait_kmcnt 0x0
	v_cmpx_gt_i32_e64 s11, v0
	s_cbranch_execz .LBB15_3
; %bb.1:
	s_clause 0x1
	s_load_b96 s[8:10], s[0:1], 0x18
	s_load_b128 s[4:7], s[0:1], 0x8
	v_ashrrev_i32_e32 v1, 31, v0
	s_delay_alu instid0(VALU_DEP_1) | instskip(SKIP_2) | instid1(SALU_CYCLE_1)
	v_lshlrev_b64_e32 v[2:3], 2, v[0:1]
	s_wait_kmcnt 0x0
	s_lshl_b32 s0, s10, 8
	s_ashr_i32 s1, s0, 31
	s_delay_alu instid0(SALU_CYCLE_1)
	s_lshl_b64 s[2:3], s[0:1], 2
.LBB15_2:                               ; =>This Inner Loop Header: Depth=1
	s_delay_alu instid0(VALU_DEP_1) | instskip(SKIP_1) | instid1(VALU_DEP_1)
	v_add_nc_u64_e32 v[4:5], s[4:5], v[2:3]
	v_add_nc_u32_e32 v0, s0, v0
	v_cmp_le_i32_e32 vcc_lo, s11, v0
	global_load_b32 v1, v[4:5], off
	s_wait_xcnt 0x0
	v_add_nc_u64_e32 v[4:5], s[8:9], v[2:3]
	v_add_nc_u64_e32 v[2:3], s[2:3], v[2:3]
	s_or_b32 s12, vcc_lo, s12
	global_load_b32 v6, v[4:5], off
	s_wait_loadcnt 0x1
	global_load_b32 v1, v1, s[6:7] scale_offset
	s_wait_loadcnt 0x0
	v_lshrrev_b32_e32 v7, 31, v1
	s_delay_alu instid0(VALU_DEP_1) | instskip(NEXT) | instid1(VALU_DEP_1)
	v_add_nc_u32_e32 v7, v1, v7
	v_and_b32_e32 v7, -2, v7
	s_wait_xcnt 0x0
	s_delay_alu instid0(VALU_DEP_1) | instskip(NEXT) | instid1(VALU_DEP_1)
	v_sub_nc_u32_e32 v1, v1, v7
	v_xad_u32 v1, v1, 1, v6
	global_store_b32 v[4:5], v1, off
	s_wait_xcnt 0x0
	s_and_not1_b32 exec_lo, exec_lo, s12
	s_cbranch_execnz .LBB15_2
.LBB15_3:
	s_endpgm
	.section	.rodata,"a",@progbits
	.p2align	6, 0x0
	.amdhsa_kernel _ZL11incrementCCiPKiS0_Pi
		.amdhsa_group_segment_fixed_size 0
		.amdhsa_private_segment_fixed_size 0
		.amdhsa_kernarg_size 288
		.amdhsa_user_sgpr_count 2
		.amdhsa_user_sgpr_dispatch_ptr 0
		.amdhsa_user_sgpr_queue_ptr 0
		.amdhsa_user_sgpr_kernarg_segment_ptr 1
		.amdhsa_user_sgpr_dispatch_id 0
		.amdhsa_user_sgpr_kernarg_preload_length 0
		.amdhsa_user_sgpr_kernarg_preload_offset 0
		.amdhsa_user_sgpr_private_segment_size 0
		.amdhsa_wavefront_size32 1
		.amdhsa_uses_dynamic_stack 0
		.amdhsa_enable_private_segment 0
		.amdhsa_system_sgpr_workgroup_id_x 1
		.amdhsa_system_sgpr_workgroup_id_y 0
		.amdhsa_system_sgpr_workgroup_id_z 0
		.amdhsa_system_sgpr_workgroup_info 0
		.amdhsa_system_vgpr_workitem_id 0
		.amdhsa_next_free_vgpr 8
		.amdhsa_next_free_sgpr 13
		.amdhsa_named_barrier_count 0
		.amdhsa_reserve_vcc 1
		.amdhsa_float_round_mode_32 0
		.amdhsa_float_round_mode_16_64 0
		.amdhsa_float_denorm_mode_32 3
		.amdhsa_float_denorm_mode_16_64 3
		.amdhsa_fp16_overflow 0
		.amdhsa_memory_ordered 1
		.amdhsa_forward_progress 1
		.amdhsa_inst_pref_size 3
		.amdhsa_round_robin_scheduling 0
		.amdhsa_exception_fp_ieee_invalid_op 0
		.amdhsa_exception_fp_denorm_src 0
		.amdhsa_exception_fp_ieee_div_zero 0
		.amdhsa_exception_fp_ieee_overflow 0
		.amdhsa_exception_fp_ieee_underflow 0
		.amdhsa_exception_fp_ieee_inexact 0
		.amdhsa_exception_int_div_zero 0
	.end_amdhsa_kernel
	.section	.text._ZL11incrementCCiPKiS0_Pi,"axG",@progbits,_ZL11incrementCCiPKiS0_Pi,comdat
.Lfunc_end15:
	.size	_ZL11incrementCCiPKiS0_Pi, .Lfunc_end15-_ZL11incrementCCiPKiS0_Pi
                                        ; -- End function
	.set _ZL11incrementCCiPKiS0_Pi.num_vgpr, 8
	.set _ZL11incrementCCiPKiS0_Pi.num_agpr, 0
	.set _ZL11incrementCCiPKiS0_Pi.numbered_sgpr, 13
	.set _ZL11incrementCCiPKiS0_Pi.num_named_barrier, 0
	.set _ZL11incrementCCiPKiS0_Pi.private_seg_size, 0
	.set _ZL11incrementCCiPKiS0_Pi.uses_vcc, 1
	.set _ZL11incrementCCiPKiS0_Pi.uses_flat_scratch, 0
	.set _ZL11incrementCCiPKiS0_Pi.has_dyn_sized_stack, 0
	.set _ZL11incrementCCiPKiS0_Pi.has_recursion, 0
	.set _ZL11incrementCCiPKiS0_Pi.has_indirect_call, 0
	.section	.AMDGPU.csdata,"",@progbits
; Kernel info:
; codeLenInByte = 272
; TotalNumSgprs: 15
; NumVgprs: 8
; ScratchSize: 0
; MemoryBound: 0
; FloatMode: 240
; IeeeMode: 1
; LDSByteSize: 0 bytes/workgroup (compile time only)
; SGPRBlocks: 0
; VGPRBlocks: 0
; NumSGPRsForWavesPerEU: 15
; NumVGPRsForWavesPerEU: 8
; NamedBarCnt: 0
; Occupancy: 16
; WaveLimiterHint : 1
; COMPUTE_PGM_RSRC2:SCRATCH_EN: 0
; COMPUTE_PGM_RSRC2:USER_SGPR: 2
; COMPUTE_PGM_RSRC2:TRAP_HANDLER: 0
; COMPUTE_PGM_RSRC2:TGID_X_EN: 1
; COMPUTE_PGM_RSRC2:TGID_Y_EN: 0
; COMPUTE_PGM_RSRC2:TGID_Z_EN: 0
; COMPUTE_PGM_RSRC2:TIDIG_COMP_CNT: 0
	.section	.AMDGPU.gpr_maximums,"",@progbits
	.set amdgpu.max_num_vgpr, 0
	.set amdgpu.max_num_agpr, 0
	.set amdgpu.max_num_sgpr, 0
	.section	.AMDGPU.csdata,"",@progbits
	.type	_ZL2hi,@object                  ; @_ZL2hi
	.local	_ZL2hi
	.comm	_ZL2hi,8,3
	.type	_ZL5wSize,@object               ; @_ZL5wSize
	.local	_ZL5wSize
	.comm	_ZL5wSize,4,2
	.type	__hip_cuid_d6f8b0b9a07c153d,@object ; @__hip_cuid_d6f8b0b9a07c153d
	.section	.bss,"aw",@nobits
	.globl	__hip_cuid_d6f8b0b9a07c153d
__hip_cuid_d6f8b0b9a07c153d:
	.byte	0                               ; 0x0
	.size	__hip_cuid_d6f8b0b9a07c153d, 1

	.ident	"AMD clang version 22.0.0git (https://github.com/RadeonOpenCompute/llvm-project roc-7.2.4 26084 f58b06dce1f9c15707c5f808fd002e18c2accf7e)"
	.section	".note.GNU-stack","",@progbits
	.addrsig
	.addrsig_sym _ZL2hi
	.addrsig_sym _ZL5wSize
	.addrsig_sym __hip_cuid_d6f8b0b9a07c153d
	.amdgpu_metadata
---
amdhsa.kernels:
  - .args:
      - .offset:         0
        .size:           4
        .value_kind:     by_value
      - .offset:         4
        .size:           4
        .value_kind:     by_value
      - .address_space:  global
        .offset:         8
        .size:           8
        .value_kind:     global_buffer
      - .address_space:  global
        .offset:         16
        .size:           8
        .value_kind:     global_buffer
      - .address_space:  global
        .offset:         24
        .size:           8
        .value_kind:     global_buffer
      - .address_space:  global
        .offset:         32
        .size:           8
        .value_kind:     global_buffer
      - .address_space:  global
        .offset:         40
        .size:           8
        .value_kind:     global_buffer
      - .address_space:  global
        .offset:         48
        .size:           8
        .value_kind:     global_buffer
      - .offset:         56
        .size:           4
        .value_kind:     hidden_block_count_x
      - .offset:         60
        .size:           4
        .value_kind:     hidden_block_count_y
      - .offset:         64
        .size:           4
        .value_kind:     hidden_block_count_z
      - .offset:         68
        .size:           2
        .value_kind:     hidden_group_size_x
      - .offset:         70
        .size:           2
        .value_kind:     hidden_group_size_y
      - .offset:         72
        .size:           2
        .value_kind:     hidden_group_size_z
      - .offset:         74
        .size:           2
        .value_kind:     hidden_remainder_x
      - .offset:         76
        .size:           2
        .value_kind:     hidden_remainder_y
      - .offset:         78
        .size:           2
        .value_kind:     hidden_remainder_z
      - .offset:         96
        .size:           8
        .value_kind:     hidden_global_offset_x
      - .offset:         104
        .size:           8
        .value_kind:     hidden_global_offset_y
      - .offset:         112
        .size:           8
        .value_kind:     hidden_global_offset_z
      - .offset:         120
        .size:           2
        .value_kind:     hidden_grid_dims
    .group_segment_fixed_size: 0
    .kernarg_segment_align: 8
    .kernarg_segment_size: 312
    .language:       OpenCL C
    .language_version:
      - 2
      - 0
    .max_flat_workgroup_size: 1024
    .name:           _ZL4initiiPiS_S_P8EdgeInfoS_S_
    .private_segment_fixed_size: 0
    .sgpr_count:     22
    .sgpr_spill_count: 0
    .symbol:         _ZL4initiiPiS_S_P8EdgeInfoS_S_.kd
    .uniform_work_group_size: 1
    .uses_dynamic_stack: false
    .vgpr_count:     9
    .vgpr_spill_count: 0
    .wavefront_size: 32
  - .args:
      - .offset:         0
        .size:           4
        .value_kind:     by_value
      - .offset:         4
        .size:           4
        .value_kind:     by_value
      - .offset:         8
        .size:           4
        .value_kind:     by_value
      - .address_space:  global
        .offset:         16
        .size:           8
        .value_kind:     global_buffer
      - .address_space:  global
        .offset:         24
        .size:           8
        .value_kind:     global_buffer
      - .address_space:  global
        .offset:         32
        .size:           8
        .value_kind:     global_buffer
      - .address_space:  global
        .offset:         40
        .size:           8
        .value_kind:     global_buffer
      - .address_space:  global
        .offset:         48
        .size:           8
        .value_kind:     global_buffer
      - .offset:         56
        .size:           4
        .value_kind:     hidden_block_count_x
      - .offset:         60
        .size:           4
        .value_kind:     hidden_block_count_y
      - .offset:         64
        .size:           4
        .value_kind:     hidden_block_count_z
      - .offset:         68
        .size:           2
        .value_kind:     hidden_group_size_x
      - .offset:         70
        .size:           2
        .value_kind:     hidden_group_size_y
      - .offset:         72
        .size:           2
        .value_kind:     hidden_group_size_z
      - .offset:         74
        .size:           2
        .value_kind:     hidden_remainder_x
      - .offset:         76
        .size:           2
        .value_kind:     hidden_remainder_y
      - .offset:         78
        .size:           2
        .value_kind:     hidden_remainder_z
      - .offset:         96
        .size:           8
        .value_kind:     hidden_global_offset_x
      - .offset:         104
        .size:           8
        .value_kind:     hidden_global_offset_y
      - .offset:         112
        .size:           8
        .value_kind:     hidden_global_offset_z
      - .offset:         120
        .size:           2
        .value_kind:     hidden_grid_dims
    .group_segment_fixed_size: 0
    .kernarg_segment_align: 8
    .kernarg_segment_size: 312
    .language:       OpenCL C
    .language_version:
      - 2
      - 0
    .max_flat_workgroup_size: 1024
    .name:           _ZL5init2iiiPiS_S_S_S_
    .private_segment_fixed_size: 0
    .sgpr_count:     22
    .sgpr_spill_count: 0
    .symbol:         _ZL5init2iiiPiS_S_S_S_.kd
    .uniform_work_group_size: 1
    .uses_dynamic_stack: false
    .vgpr_count:     10
    .vgpr_spill_count: 0
    .wavefront_size: 32
  - .args:
      - .offset:         0
        .size:           4
        .value_kind:     by_value
      - .actual_access:  read_only
        .address_space:  global
        .offset:         8
        .size:           8
        .value_kind:     global_buffer
      - .actual_access:  read_only
        .address_space:  global
        .offset:         16
        .size:           8
        .value_kind:     global_buffer
      - .offset:         24
        .size:           4
        .value_kind:     by_value
      - .address_space:  global
        .offset:         32
        .size:           8
        .value_kind:     global_buffer
      - .address_space:  global
        .offset:         40
        .size:           8
        .value_kind:     global_buffer
      - .address_space:  global
        .offset:         48
        .size:           8
        .value_kind:     global_buffer
      - .offset:         56
        .size:           4
        .value_kind:     by_value
      - .address_space:  global
        .offset:         64
        .size:           8
        .value_kind:     global_buffer
      - .offset:         72
        .size:           4
        .value_kind:     by_value
      - .offset:         76
        .size:           4
        .value_kind:     by_value
      - .offset:         80
        .size:           4
        .value_kind:     hidden_block_count_x
      - .offset:         84
        .size:           4
        .value_kind:     hidden_block_count_y
      - .offset:         88
        .size:           4
        .value_kind:     hidden_block_count_z
      - .offset:         92
        .size:           2
        .value_kind:     hidden_group_size_x
      - .offset:         94
        .size:           2
        .value_kind:     hidden_group_size_y
      - .offset:         96
        .size:           2
        .value_kind:     hidden_group_size_z
      - .offset:         98
        .size:           2
        .value_kind:     hidden_remainder_x
      - .offset:         100
        .size:           2
        .value_kind:     hidden_remainder_y
      - .offset:         102
        .size:           2
        .value_kind:     hidden_remainder_z
      - .offset:         120
        .size:           8
        .value_kind:     hidden_global_offset_x
      - .offset:         128
        .size:           8
        .value_kind:     hidden_global_offset_y
      - .offset:         136
        .size:           8
        .value_kind:     hidden_global_offset_z
      - .offset:         144
        .size:           2
        .value_kind:     hidden_grid_dims
    .group_segment_fixed_size: 0
    .kernarg_segment_align: 8
    .kernarg_segment_size: 336
    .language:       OpenCL C
    .language_version:
      - 2
      - 0
    .max_flat_workgroup_size: 1024
    .name:           _ZL20generateSpanningTreeiPKiS0_iP8EdgeInfoPiS3_iS3_ii
    .private_segment_fixed_size: 0
    .sgpr_count:     31
    .sgpr_spill_count: 0
    .symbol:         _ZL20generateSpanningTreeiPKiS0_iP8EdgeInfoPiS3_iS3_ii.kd
    .uniform_work_group_size: 1
    .uses_dynamic_stack: false
    .vgpr_count:     15
    .vgpr_spill_count: 0
    .wavefront_size: 32
  - .args:
      - .address_space:  global
        .offset:         0
        .size:           8
        .value_kind:     global_buffer
      - .address_space:  global
        .offset:         8
        .size:           8
        .value_kind:     global_buffer
      - .address_space:  global
        .offset:         16
        .size:           8
        .value_kind:     global_buffer
      - .offset:         24
        .size:           4
        .value_kind:     by_value
      - .offset:         28
        .size:           4
        .value_kind:     by_value
      - .offset:         32
        .size:           4
        .value_kind:     by_value
      - .offset:         40
        .size:           4
        .value_kind:     hidden_block_count_x
      - .offset:         44
        .size:           4
        .value_kind:     hidden_block_count_y
      - .offset:         48
        .size:           4
        .value_kind:     hidden_block_count_z
      - .offset:         52
        .size:           2
        .value_kind:     hidden_group_size_x
      - .offset:         54
        .size:           2
        .value_kind:     hidden_group_size_y
      - .offset:         56
        .size:           2
        .value_kind:     hidden_group_size_z
      - .offset:         58
        .size:           2
        .value_kind:     hidden_remainder_x
      - .offset:         60
        .size:           2
        .value_kind:     hidden_remainder_y
      - .offset:         62
        .size:           2
        .value_kind:     hidden_remainder_z
      - .offset:         80
        .size:           8
        .value_kind:     hidden_global_offset_x
      - .offset:         88
        .size:           8
        .value_kind:     hidden_global_offset_y
      - .offset:         96
        .size:           8
        .value_kind:     hidden_global_offset_z
      - .offset:         104
        .size:           2
        .value_kind:     hidden_grid_dims
    .group_segment_fixed_size: 0
    .kernarg_segment_align: 8
    .kernarg_segment_size: 296
    .language:       OpenCL C
    .language_version:
      - 2
      - 0
    .max_flat_workgroup_size: 1024
    .name:           _ZL9rootcountPKiS0_Piiii
    .private_segment_fixed_size: 0
    .sgpr_count:     13
    .sgpr_spill_count: 0
    .symbol:         _ZL9rootcountPKiS0_Piiii.kd
    .uniform_work_group_size: 1
    .uses_dynamic_stack: false
    .vgpr_count:     6
    .vgpr_spill_count: 0
    .wavefront_size: 32
  - .args:
      - .offset:         0
        .size:           4
        .value_kind:     by_value
      - .actual_access:  read_only
        .address_space:  global
        .offset:         8
        .size:           8
        .value_kind:     global_buffer
      - .address_space:  global
        .offset:         16
        .size:           8
        .value_kind:     global_buffer
      - .address_space:  global
        .offset:         24
        .size:           8
        .value_kind:     global_buffer
      - .address_space:  global
        .offset:         32
        .size:           8
        .value_kind:     global_buffer
      - .address_space:  global
        .offset:         40
        .size:           8
        .value_kind:     global_buffer
      - .actual_access:  read_only
        .address_space:  global
        .offset:         48
        .size:           8
        .value_kind:     global_buffer
      - .actual_access:  read_only
        .address_space:  global
        .offset:         56
        .size:           8
        .value_kind:     global_buffer
      - .address_space:  global
        .offset:         64
        .size:           8
        .value_kind:     global_buffer
      - .offset:         72
        .size:           4
        .value_kind:     by_value
      - .offset:         76
        .size:           4
        .value_kind:     by_value
      - .offset:         80
        .size:           4
        .value_kind:     by_value
      - .offset:         88
        .size:           4
        .value_kind:     hidden_block_count_x
      - .offset:         92
        .size:           4
        .value_kind:     hidden_block_count_y
      - .offset:         96
        .size:           4
        .value_kind:     hidden_block_count_z
      - .offset:         100
        .size:           2
        .value_kind:     hidden_group_size_x
      - .offset:         102
        .size:           2
        .value_kind:     hidden_group_size_y
      - .offset:         104
        .size:           2
        .value_kind:     hidden_group_size_z
      - .offset:         106
        .size:           2
        .value_kind:     hidden_remainder_x
      - .offset:         108
        .size:           2
        .value_kind:     hidden_remainder_y
      - .offset:         110
        .size:           2
        .value_kind:     hidden_remainder_z
      - .offset:         128
        .size:           8
        .value_kind:     hidden_global_offset_x
      - .offset:         136
        .size:           8
        .value_kind:     hidden_global_offset_y
      - .offset:         144
        .size:           8
        .value_kind:     hidden_global_offset_z
      - .offset:         152
        .size:           2
        .value_kind:     hidden_grid_dims
    .group_segment_fixed_size: 0
    .kernarg_segment_align: 8
    .kernarg_segment_size: 344
    .language:       OpenCL C
    .language_version:
      - 2
      - 0
    .max_flat_workgroup_size: 1024
    .name:           _ZL9treelabeliPKiPViP8EdgeInfoS2_S2_S0_S0_Piiii
    .private_segment_fixed_size: 8
    .sgpr_count:     34
    .sgpr_spill_count: 0
    .symbol:         _ZL9treelabeliPKiPViP8EdgeInfoS2_S2_S0_S0_Piiii.kd
    .uniform_work_group_size: 1
    .uses_dynamic_stack: false
    .vgpr_count:     49
    .vgpr_spill_count: 0
    .wavefront_size: 32
  - .args:
      - .offset:         0
        .size:           4
        .value_kind:     by_value
      - .actual_access:  read_only
        .address_space:  global
        .offset:         8
        .size:           8
        .value_kind:     global_buffer
      - .address_space:  global
        .offset:         16
        .size:           8
        .value_kind:     global_buffer
      - .offset:         24
        .size:           4
        .value_kind:     hidden_block_count_x
      - .offset:         28
        .size:           4
        .value_kind:     hidden_block_count_y
      - .offset:         32
        .size:           4
        .value_kind:     hidden_block_count_z
      - .offset:         36
        .size:           2
        .value_kind:     hidden_group_size_x
      - .offset:         38
        .size:           2
        .value_kind:     hidden_group_size_y
      - .offset:         40
        .size:           2
        .value_kind:     hidden_group_size_z
      - .offset:         42
        .size:           2
        .value_kind:     hidden_remainder_x
      - .offset:         44
        .size:           2
        .value_kind:     hidden_remainder_y
      - .offset:         46
        .size:           2
        .value_kind:     hidden_remainder_z
      - .offset:         64
        .size:           8
        .value_kind:     hidden_global_offset_x
      - .offset:         72
        .size:           8
        .value_kind:     hidden_global_offset_y
      - .offset:         80
        .size:           8
        .value_kind:     hidden_global_offset_z
      - .offset:         88
        .size:           2
        .value_kind:     hidden_grid_dims
    .group_segment_fixed_size: 0
    .kernarg_segment_align: 8
    .kernarg_segment_size: 280
    .language:       OpenCL C
    .language_version:
      - 2
      - 0
    .max_flat_workgroup_size: 1024
    .name:           _ZL12inTreeUpdateiPKiPVi
    .private_segment_fixed_size: 0
    .sgpr_count:     12
    .sgpr_spill_count: 0
    .symbol:         _ZL12inTreeUpdateiPKiPVi.kd
    .uniform_work_group_size: 1
    .uses_dynamic_stack: false
    .vgpr_count:     9
    .vgpr_spill_count: 0
    .wavefront_size: 32
  - .args:
      - .offset:         0
        .size:           4
        .value_kind:     by_value
      - .actual_access:  read_only
        .address_space:  global
        .offset:         8
        .size:           8
        .value_kind:     global_buffer
      - .actual_access:  read_only
        .address_space:  global
        .offset:         16
        .size:           8
        .value_kind:     global_buffer
      - .actual_access:  read_only
        .address_space:  global
        .offset:         24
        .size:           8
        .value_kind:     global_buffer
      - .actual_access:  read_only
        .address_space:  global
        .offset:         32
        .size:           8
        .value_kind:     global_buffer
      - .actual_access:  write_only
        .address_space:  global
        .offset:         40
        .size:           8
        .value_kind:     global_buffer
      - .offset:         48
        .size:           4
        .value_kind:     hidden_block_count_x
      - .offset:         52
        .size:           4
        .value_kind:     hidden_block_count_y
      - .offset:         56
        .size:           4
        .value_kind:     hidden_block_count_z
      - .offset:         60
        .size:           2
        .value_kind:     hidden_group_size_x
      - .offset:         62
        .size:           2
        .value_kind:     hidden_group_size_y
      - .offset:         64
        .size:           2
        .value_kind:     hidden_group_size_z
      - .offset:         66
        .size:           2
        .value_kind:     hidden_remainder_x
      - .offset:         68
        .size:           2
        .value_kind:     hidden_remainder_y
      - .offset:         70
        .size:           2
        .value_kind:     hidden_remainder_z
      - .offset:         88
        .size:           8
        .value_kind:     hidden_global_offset_x
      - .offset:         96
        .size:           8
        .value_kind:     hidden_global_offset_y
      - .offset:         104
        .size:           8
        .value_kind:     hidden_global_offset_z
      - .offset:         112
        .size:           2
        .value_kind:     hidden_grid_dims
    .group_segment_fixed_size: 0
    .kernarg_segment_align: 8
    .kernarg_segment_size: 304
    .language:       OpenCL C
    .language_version:
      - 2
      - 0
    .max_flat_workgroup_size: 1024
    .name:           _ZL13processCyclesiPKiS0_S0_PK8EdgeInfoPb
    .private_segment_fixed_size: 0
    .sgpr_count:     24
    .sgpr_spill_count: 0
    .symbol:         _ZL13processCyclesiPKiS0_S0_PK8EdgeInfoPb.kd
    .uniform_work_group_size: 1
    .uses_dynamic_stack: false
    .vgpr_count:     15
    .vgpr_spill_count: 0
    .wavefront_size: 32
  - .args:
      - .offset:         0
        .size:           4
        .value_kind:     by_value
      - .offset:         4
        .size:           4
        .value_kind:     by_value
      - .actual_access:  read_only
        .address_space:  global
        .offset:         8
        .size:           8
        .value_kind:     global_buffer
      - .actual_access:  read_only
        .address_space:  global
        .offset:         16
        .size:           8
        .value_kind:     global_buffer
      - .address_space:  global
        .offset:         24
        .size:           8
        .value_kind:     global_buffer
      - .address_space:  global
        .offset:         32
        .size:           8
        .value_kind:     global_buffer
      - .offset:         40
        .size:           4
        .value_kind:     hidden_block_count_x
      - .offset:         44
        .size:           4
        .value_kind:     hidden_block_count_y
      - .offset:         48
        .size:           4
        .value_kind:     hidden_block_count_z
      - .offset:         52
        .size:           2
        .value_kind:     hidden_group_size_x
      - .offset:         54
        .size:           2
        .value_kind:     hidden_group_size_y
      - .offset:         56
        .size:           2
        .value_kind:     hidden_group_size_z
      - .offset:         58
        .size:           2
        .value_kind:     hidden_remainder_x
      - .offset:         60
        .size:           2
        .value_kind:     hidden_remainder_y
      - .offset:         62
        .size:           2
        .value_kind:     hidden_remainder_z
      - .offset:         80
        .size:           8
        .value_kind:     hidden_global_offset_x
      - .offset:         88
        .size:           8
        .value_kind:     hidden_global_offset_y
      - .offset:         96
        .size:           8
        .value_kind:     hidden_global_offset_z
      - .offset:         104
        .size:           2
        .value_kind:     hidden_grid_dims
    .group_segment_fixed_size: 0
    .kernarg_segment_align: 8
    .kernarg_segment_size: 296
    .language:       OpenCL C
    .language_version:
      - 2
      - 0
    .max_flat_workgroup_size: 1024
    .name:           _ZL9initMinusiiPKiS0_PK8EdgeInfoPb
    .private_segment_fixed_size: 0
    .sgpr_count:     22
    .sgpr_spill_count: 0
    .symbol:         _ZL9initMinusiiPKiS0_PK8EdgeInfoPb.kd
    .uniform_work_group_size: 1
    .uses_dynamic_stack: false
    .vgpr_count:     14
    .vgpr_spill_count: 0
    .wavefront_size: 32
  - .args:
      - .offset:         0
        .size:           4
        .value_kind:     by_value
      - .actual_access:  read_only
        .address_space:  global
        .offset:         8
        .size:           8
        .value_kind:     global_buffer
      - .actual_access:  read_only
        .address_space:  global
        .offset:         16
        .size:           8
        .value_kind:     global_buffer
      - .actual_access:  write_only
        .address_space:  global
        .offset:         24
        .size:           8
        .value_kind:     global_buffer
      - .actual_access:  write_only
        .address_space:  global
        .offset:         32
        .size:           8
        .value_kind:     global_buffer
      - .offset:         40
        .size:           4
        .value_kind:     hidden_block_count_x
      - .offset:         44
        .size:           4
        .value_kind:     hidden_block_count_y
      - .offset:         48
        .size:           4
        .value_kind:     hidden_block_count_z
      - .offset:         52
        .size:           2
        .value_kind:     hidden_group_size_x
      - .offset:         54
        .size:           2
        .value_kind:     hidden_group_size_y
      - .offset:         56
        .size:           2
        .value_kind:     hidden_group_size_z
      - .offset:         58
        .size:           2
        .value_kind:     hidden_remainder_x
      - .offset:         60
        .size:           2
        .value_kind:     hidden_remainder_y
      - .offset:         62
        .size:           2
        .value_kind:     hidden_remainder_z
      - .offset:         80
        .size:           8
        .value_kind:     hidden_global_offset_x
      - .offset:         88
        .size:           8
        .value_kind:     hidden_global_offset_y
      - .offset:         96
        .size:           8
        .value_kind:     hidden_global_offset_z
      - .offset:         104
        .size:           2
        .value_kind:     hidden_grid_dims
    .group_segment_fixed_size: 0
    .kernarg_segment_align: 8
    .kernarg_segment_size: 296
    .language:       OpenCL C
    .language_version:
      - 2
      - 0
    .max_flat_workgroup_size: 1024
    .name:           _ZL5init3iPKiS0_PiS1_
    .private_segment_fixed_size: 0
    .sgpr_count:     14
    .sgpr_spill_count: 0
    .symbol:         _ZL5init3iPKiS0_PiS1_.kd
    .uniform_work_group_size: 1
    .uses_dynamic_stack: false
    .vgpr_count:     10
    .vgpr_spill_count: 0
    .wavefront_size: 32
  - .args:
      - .offset:         0
        .size:           4
        .value_kind:     by_value
      - .actual_access:  read_only
        .address_space:  global
        .offset:         8
        .size:           8
        .value_kind:     global_buffer
      - .actual_access:  read_only
        .address_space:  global
        .offset:         16
        .size:           8
        .value_kind:     global_buffer
      - .address_space:  global
        .offset:         24
        .size:           8
        .value_kind:     global_buffer
      - .actual_access:  read_only
        .address_space:  global
        .offset:         32
        .size:           8
        .value_kind:     global_buffer
      - .address_space:  global
        .offset:         40
        .size:           8
        .value_kind:     global_buffer
      - .offset:         48
        .size:           4
        .value_kind:     hidden_block_count_x
      - .offset:         52
        .size:           4
        .value_kind:     hidden_block_count_y
      - .offset:         56
        .size:           4
        .value_kind:     hidden_block_count_z
      - .offset:         60
        .size:           2
        .value_kind:     hidden_group_size_x
      - .offset:         62
        .size:           2
        .value_kind:     hidden_group_size_y
      - .offset:         64
        .size:           2
        .value_kind:     hidden_group_size_z
      - .offset:         66
        .size:           2
        .value_kind:     hidden_remainder_x
      - .offset:         68
        .size:           2
        .value_kind:     hidden_remainder_y
      - .offset:         70
        .size:           2
        .value_kind:     hidden_remainder_z
      - .offset:         88
        .size:           8
        .value_kind:     hidden_global_offset_x
      - .offset:         96
        .size:           8
        .value_kind:     hidden_global_offset_y
      - .offset:         104
        .size:           8
        .value_kind:     hidden_global_offset_z
      - .offset:         112
        .size:           2
        .value_kind:     hidden_grid_dims
    .group_segment_fixed_size: 0
    .kernarg_segment_align: 8
    .kernarg_segment_size: 304
    .language:       OpenCL C
    .language_version:
      - 2
      - 0
    .max_flat_workgroup_size: 1024
    .name:           _ZL8compute1iPKiS0_PiPKbS1_
    .private_segment_fixed_size: 0
    .sgpr_count:     24
    .sgpr_spill_count: 0
    .symbol:         _ZL8compute1iPKiS0_PiPKbS1_.kd
    .uniform_work_group_size: 1
    .uses_dynamic_stack: false
    .vgpr_count:     12
    .vgpr_spill_count: 0
    .wavefront_size: 32
  - .args:
      - .offset:         0
        .size:           4
        .value_kind:     by_value
      - .address_space:  global
        .offset:         8
        .size:           8
        .value_kind:     global_buffer
      - .offset:         16
        .size:           4
        .value_kind:     hidden_block_count_x
      - .offset:         20
        .size:           4
        .value_kind:     hidden_block_count_y
      - .offset:         24
        .size:           4
        .value_kind:     hidden_block_count_z
      - .offset:         28
        .size:           2
        .value_kind:     hidden_group_size_x
      - .offset:         30
        .size:           2
        .value_kind:     hidden_group_size_y
      - .offset:         32
        .size:           2
        .value_kind:     hidden_group_size_z
      - .offset:         34
        .size:           2
        .value_kind:     hidden_remainder_x
      - .offset:         36
        .size:           2
        .value_kind:     hidden_remainder_y
      - .offset:         38
        .size:           2
        .value_kind:     hidden_remainder_z
      - .offset:         56
        .size:           8
        .value_kind:     hidden_global_offset_x
      - .offset:         64
        .size:           8
        .value_kind:     hidden_global_offset_y
      - .offset:         72
        .size:           8
        .value_kind:     hidden_global_offset_z
      - .offset:         80
        .size:           2
        .value_kind:     hidden_grid_dims
    .group_segment_fixed_size: 0
    .kernarg_segment_align: 8
    .kernarg_segment_size: 272
    .language:       OpenCL C
    .language_version:
      - 2
      - 0
    .max_flat_workgroup_size: 1024
    .name:           _ZL7flatteniPi
    .private_segment_fixed_size: 0
    .sgpr_count:     9
    .sgpr_spill_count: 0
    .symbol:         _ZL7flatteniPi.kd
    .uniform_work_group_size: 1
    .uses_dynamic_stack: false
    .vgpr_count:     6
    .vgpr_spill_count: 0
    .wavefront_size: 32
  - .args:
      - .offset:         0
        .size:           4
        .value_kind:     by_value
      - .actual_access:  read_only
        .address_space:  global
        .offset:         8
        .size:           8
        .value_kind:     global_buffer
      - .address_space:  global
        .offset:         16
        .size:           8
        .value_kind:     global_buffer
      - .offset:         24
        .size:           4
        .value_kind:     hidden_block_count_x
      - .offset:         28
        .size:           4
        .value_kind:     hidden_block_count_y
      - .offset:         32
        .size:           4
        .value_kind:     hidden_block_count_z
      - .offset:         36
        .size:           2
        .value_kind:     hidden_group_size_x
      - .offset:         38
        .size:           2
        .value_kind:     hidden_group_size_y
      - .offset:         40
        .size:           2
        .value_kind:     hidden_group_size_z
      - .offset:         42
        .size:           2
        .value_kind:     hidden_remainder_x
      - .offset:         44
        .size:           2
        .value_kind:     hidden_remainder_y
      - .offset:         46
        .size:           2
        .value_kind:     hidden_remainder_z
      - .offset:         64
        .size:           8
        .value_kind:     hidden_global_offset_x
      - .offset:         72
        .size:           8
        .value_kind:     hidden_global_offset_y
      - .offset:         80
        .size:           8
        .value_kind:     hidden_global_offset_z
      - .offset:         88
        .size:           2
        .value_kind:     hidden_grid_dims
    .group_segment_fixed_size: 0
    .kernarg_segment_align: 8
    .kernarg_segment_size: 280
    .language:       OpenCL C
    .language_version:
      - 2
      - 0
    .max_flat_workgroup_size: 1024
    .name:           _ZL6ccSizeiPKiPi
    .private_segment_fixed_size: 0
    .sgpr_count:     12
    .sgpr_spill_count: 0
    .symbol:         _ZL6ccSizeiPKiPi.kd
    .uniform_work_group_size: 1
    .uses_dynamic_stack: false
    .vgpr_count:     5
    .vgpr_spill_count: 0
    .wavefront_size: 32
  - .args:
      - .offset:         0
        .size:           4
        .value_kind:     by_value
      - .actual_access:  read_only
        .address_space:  global
        .offset:         8
        .size:           8
        .value_kind:     global_buffer
      - .offset:         16
        .size:           4
        .value_kind:     hidden_block_count_x
      - .offset:         20
        .size:           4
        .value_kind:     hidden_block_count_y
      - .offset:         24
        .size:           4
        .value_kind:     hidden_block_count_z
      - .offset:         28
        .size:           2
        .value_kind:     hidden_group_size_x
      - .offset:         30
        .size:           2
        .value_kind:     hidden_group_size_y
      - .offset:         32
        .size:           2
        .value_kind:     hidden_group_size_z
      - .offset:         34
        .size:           2
        .value_kind:     hidden_remainder_x
      - .offset:         36
        .size:           2
        .value_kind:     hidden_remainder_y
      - .offset:         38
        .size:           2
        .value_kind:     hidden_remainder_z
      - .offset:         56
        .size:           8
        .value_kind:     hidden_global_offset_x
      - .offset:         64
        .size:           8
        .value_kind:     hidden_global_offset_y
      - .offset:         72
        .size:           8
        .value_kind:     hidden_global_offset_z
      - .offset:         80
        .size:           2
        .value_kind:     hidden_grid_dims
    .group_segment_fixed_size: 0
    .kernarg_segment_align: 8
    .kernarg_segment_size: 272
    .language:       OpenCL C
    .language_version:
      - 2
      - 0
    .max_flat_workgroup_size: 1024
    .name:           _ZL9largestCCiPKi
    .private_segment_fixed_size: 0
    .sgpr_count:     14
    .sgpr_spill_count: 0
    .symbol:         _ZL9largestCCiPKi.kd
    .uniform_work_group_size: 1
    .uses_dynamic_stack: false
    .vgpr_count:     7
    .vgpr_spill_count: 0
    .wavefront_size: 32
  - .args:
      - .offset:         0
        .size:           4
        .value_kind:     by_value
      - .actual_access:  read_only
        .address_space:  global
        .offset:         8
        .size:           8
        .value_kind:     global_buffer
      - .actual_access:  read_only
        .address_space:  global
        .offset:         16
        .size:           8
        .value_kind:     global_buffer
      - .actual_access:  read_only
        .address_space:  global
        .offset:         24
        .size:           8
        .value_kind:     global_buffer
      - .actual_access:  write_only
        .address_space:  global
        .offset:         32
        .size:           8
        .value_kind:     global_buffer
      - .actual_access:  write_only
        .address_space:  global
        .offset:         40
        .size:           8
        .value_kind:     global_buffer
      - .actual_access:  write_only
        .address_space:  global
        .offset:         48
        .size:           8
        .value_kind:     global_buffer
      - .offset:         56
        .size:           4
        .value_kind:     hidden_block_count_x
      - .offset:         60
        .size:           4
        .value_kind:     hidden_block_count_y
      - .offset:         64
        .size:           4
        .value_kind:     hidden_block_count_z
      - .offset:         68
        .size:           2
        .value_kind:     hidden_group_size_x
      - .offset:         70
        .size:           2
        .value_kind:     hidden_group_size_y
      - .offset:         72
        .size:           2
        .value_kind:     hidden_group_size_z
      - .offset:         74
        .size:           2
        .value_kind:     hidden_remainder_x
      - .offset:         76
        .size:           2
        .value_kind:     hidden_remainder_y
      - .offset:         78
        .size:           2
        .value_kind:     hidden_remainder_z
      - .offset:         96
        .size:           8
        .value_kind:     hidden_global_offset_x
      - .offset:         104
        .size:           8
        .value_kind:     hidden_global_offset_y
      - .offset:         112
        .size:           8
        .value_kind:     hidden_global_offset_z
      - .offset:         120
        .size:           2
        .value_kind:     hidden_grid_dims
    .group_segment_fixed_size: 0
    .kernarg_segment_align: 8
    .kernarg_segment_size: 312
    .language:       OpenCL C
    .language_version:
      - 2
      - 0
    .max_flat_workgroup_size: 1024
    .name:           _ZL10ccHopCountiPKiS0_S0_PiS1_S1_
    .private_segment_fixed_size: 0
    .sgpr_count:     25
    .sgpr_spill_count: 0
    .symbol:         _ZL10ccHopCountiPKiS0_S0_PiS1_S1_.kd
    .uniform_work_group_size: 1
    .uses_dynamic_stack: false
    .vgpr_count:     12
    .vgpr_spill_count: 0
    .wavefront_size: 32
  - .args:
      - .address_space:  global
        .offset:         0
        .size:           8
        .value_kind:     global_buffer
      - .actual_access:  write_only
        .address_space:  global
        .offset:         8
        .size:           8
        .value_kind:     global_buffer
      - .actual_access:  read_only
        .address_space:  global
        .offset:         16
        .size:           8
        .value_kind:     global_buffer
      - .actual_access:  read_only
        .address_space:  global
        .offset:         24
        .size:           8
        .value_kind:     global_buffer
      - .offset:         32
        .size:           4
        .value_kind:     hidden_block_count_x
      - .offset:         36
        .size:           4
        .value_kind:     hidden_block_count_y
      - .offset:         40
        .size:           4
        .value_kind:     hidden_block_count_z
      - .offset:         44
        .size:           2
        .value_kind:     hidden_group_size_x
      - .offset:         46
        .size:           2
        .value_kind:     hidden_group_size_y
      - .offset:         48
        .size:           2
        .value_kind:     hidden_group_size_z
      - .offset:         50
        .size:           2
        .value_kind:     hidden_remainder_x
      - .offset:         52
        .size:           2
        .value_kind:     hidden_remainder_y
      - .offset:         54
        .size:           2
        .value_kind:     hidden_remainder_z
      - .offset:         72
        .size:           8
        .value_kind:     hidden_global_offset_x
      - .offset:         80
        .size:           8
        .value_kind:     hidden_global_offset_y
      - .offset:         88
        .size:           8
        .value_kind:     hidden_global_offset_z
      - .offset:         96
        .size:           2
        .value_kind:     hidden_grid_dims
    .group_segment_fixed_size: 0
    .kernarg_segment_align: 8
    .kernarg_segment_size: 288
    .language:       OpenCL C
    .language_version:
      - 2
      - 0
    .max_flat_workgroup_size: 1024
    .name:           _ZL11BellmanFordPiPbPKiS2_
    .private_segment_fixed_size: 0
    .sgpr_count:     18
    .sgpr_spill_count: 0
    .symbol:         _ZL11BellmanFordPiPbPKiS2_.kd
    .uniform_work_group_size: 1
    .uses_dynamic_stack: false
    .vgpr_count:     14
    .vgpr_spill_count: 0
    .wavefront_size: 32
  - .args:
      - .offset:         0
        .size:           4
        .value_kind:     by_value
      - .actual_access:  read_only
        .address_space:  global
        .offset:         8
        .size:           8
        .value_kind:     global_buffer
      - .actual_access:  read_only
        .address_space:  global
        .offset:         16
        .size:           8
        .value_kind:     global_buffer
      - .address_space:  global
        .offset:         24
        .size:           8
        .value_kind:     global_buffer
      - .offset:         32
        .size:           4
        .value_kind:     hidden_block_count_x
      - .offset:         36
        .size:           4
        .value_kind:     hidden_block_count_y
      - .offset:         40
        .size:           4
        .value_kind:     hidden_block_count_z
      - .offset:         44
        .size:           2
        .value_kind:     hidden_group_size_x
      - .offset:         46
        .size:           2
        .value_kind:     hidden_group_size_y
      - .offset:         48
        .size:           2
        .value_kind:     hidden_group_size_z
      - .offset:         50
        .size:           2
        .value_kind:     hidden_remainder_x
      - .offset:         52
        .size:           2
        .value_kind:     hidden_remainder_y
      - .offset:         54
        .size:           2
        .value_kind:     hidden_remainder_z
      - .offset:         72
        .size:           8
        .value_kind:     hidden_global_offset_x
      - .offset:         80
        .size:           8
        .value_kind:     hidden_global_offset_y
      - .offset:         88
        .size:           8
        .value_kind:     hidden_global_offset_z
      - .offset:         96
        .size:           2
        .value_kind:     hidden_grid_dims
    .group_segment_fixed_size: 0
    .kernarg_segment_align: 8
    .kernarg_segment_size: 288
    .language:       OpenCL C
    .language_version:
      - 2
      - 0
    .max_flat_workgroup_size: 1024
    .name:           _ZL11incrementCCiPKiS0_Pi
    .private_segment_fixed_size: 0
    .sgpr_count:     15
    .sgpr_spill_count: 0
    .symbol:         _ZL11incrementCCiPKiS0_Pi.kd
    .uniform_work_group_size: 1
    .uses_dynamic_stack: false
    .vgpr_count:     8
    .vgpr_spill_count: 0
    .wavefront_size: 32
amdhsa.target:   amdgcn-amd-amdhsa--gfx1250
amdhsa.version:
  - 1
  - 2
...

	.end_amdgpu_metadata
